;; amdgpu-corpus repo=ROCm/rocFFT kind=compiled arch=gfx906 opt=O3
	.text
	.amdgcn_target "amdgcn-amd-amdhsa--gfx906"
	.amdhsa_code_object_version 6
	.protected	bluestein_single_back_len210_dim1_half_op_CI_CI ; -- Begin function bluestein_single_back_len210_dim1_half_op_CI_CI
	.globl	bluestein_single_back_len210_dim1_half_op_CI_CI
	.p2align	8
	.type	bluestein_single_back_len210_dim1_half_op_CI_CI,@function
bluestein_single_back_len210_dim1_half_op_CI_CI: ; @bluestein_single_back_len210_dim1_half_op_CI_CI
; %bb.0:
	s_load_dwordx4 s[0:3], s[4:5], 0x28
	v_mul_u32_u24_e32 v1, 0x889, v0
	v_lshrrev_b32_e32 v1, 16, v1
	v_lshl_add_u32 v4, s6, 1, v1
	v_mov_b32_e32 v5, 0
	s_waitcnt lgkmcnt(0)
	v_cmp_gt_u64_e32 vcc, s[0:1], v[4:5]
	s_and_saveexec_b64 s[0:1], vcc
	s_cbranch_execz .LBB0_23
; %bb.1:
	s_load_dwordx2 s[6:7], s[4:5], 0x0
	s_load_dwordx2 s[12:13], s[4:5], 0x38
	v_mul_lo_u16_e32 v2, 30, v1
	v_sub_u16_e32 v25, v0, v2
	v_and_b32_e32 v0, 1, v1
	v_mov_b32_e32 v1, 0xd2
	v_cmp_eq_u32_e32 vcc, 1, v0
	v_cndmask_b32_e32 v26, 0, v1, vcc
	v_cmp_gt_u16_e32 vcc, 21, v25
	v_lshlrev_b32_e32 v24, 2, v25
	v_lshlrev_b32_e32 v27, 2, v26
	s_and_saveexec_b64 s[8:9], vcc
	s_cbranch_execz .LBB0_3
; %bb.2:
	s_load_dwordx2 s[0:1], s[4:5], 0x18
	s_waitcnt lgkmcnt(0)
	s_load_dwordx4 s[16:19], s[0:1], 0x0
	s_waitcnt lgkmcnt(0)
	v_mad_u64_u32 v[0:1], s[0:1], s18, v4, 0
	v_mad_u64_u32 v[2:3], s[0:1], s16, v25, 0
	;; [unrolled: 1-line block ×4, first 2 shown]
	v_mov_b32_e32 v1, v5
	v_lshlrev_b64 v[0:1], 2, v[0:1]
	v_mov_b32_e32 v3, v6
	v_mov_b32_e32 v7, s3
	v_lshlrev_b64 v[2:3], 2, v[2:3]
	v_add_co_u32_e64 v0, s[0:1], s2, v0
	v_addc_co_u32_e64 v1, s[0:1], v7, v1, s[0:1]
	v_add_co_u32_e64 v0, s[0:1], v0, v2
	v_addc_co_u32_e64 v1, s[0:1], v1, v3, s[0:1]
	s_mul_i32 s0, s17, 0x54
	s_mul_hi_u32 s1, s16, 0x54
	s_add_i32 s2, s1, s0
	s_mul_i32 s3, s16, 0x54
	global_load_dword v2, v[0:1], off
	global_load_dword v3, v24, s[6:7]
	v_mov_b32_e32 v5, s2
	v_add_co_u32_e64 v0, s[0:1], s3, v0
	v_addc_co_u32_e64 v1, s[0:1], v1, v5, s[0:1]
	global_load_dword v5, v[0:1], off
	global_load_dword v6, v24, s[6:7] offset:84
	v_mov_b32_e32 v7, s2
	v_add_co_u32_e64 v0, s[0:1], s3, v0
	v_addc_co_u32_e64 v1, s[0:1], v1, v7, s[0:1]
	global_load_dword v7, v[0:1], off
	global_load_dword v8, v24, s[6:7] offset:168
	;; [unrolled: 5-line block ×6, first 2 shown]
	global_load_dword v17, v24, s[6:7] offset:588
	v_mov_b32_e32 v18, s2
	v_add_co_u32_e64 v0, s[0:1], s3, v0
	v_addc_co_u32_e64 v1, s[0:1], v1, v18, s[0:1]
	global_load_dword v18, v[0:1], off
	v_mov_b32_e32 v19, s2
	v_add_co_u32_e64 v0, s[0:1], s3, v0
	v_addc_co_u32_e64 v1, s[0:1], v1, v19, s[0:1]
	global_load_dword v19, v[0:1], off
	global_load_dword v20, v24, s[6:7] offset:672
	v_mov_b32_e32 v21, s2
	v_add_co_u32_e64 v0, s[0:1], s3, v0
	v_addc_co_u32_e64 v1, s[0:1], v1, v21, s[0:1]
	global_load_dword v21, v[0:1], off
	global_load_dword v22, v24, s[6:7] offset:756
	v_lshl_add_u32 v0, v25, 2, v27
	s_waitcnt vmcnt(19)
	v_lshrrev_b32_e32 v1, 16, v2
	s_waitcnt vmcnt(18)
	v_mul_f16_sdwa v23, v3, v2 dst_sel:DWORD dst_unused:UNUSED_PAD src0_sel:WORD_1 src1_sel:DWORD
	v_fma_f16 v23, v3, v1, -v23
	v_mul_f16_sdwa v1, v3, v1 dst_sel:DWORD dst_unused:UNUSED_PAD src0_sel:WORD_1 src1_sel:DWORD
	v_fma_f16 v1, v3, v2, v1
	v_pack_b32_f16 v1, v1, v23
	s_waitcnt vmcnt(17)
	v_lshrrev_b32_e32 v28, 16, v5
	s_waitcnt vmcnt(16)
	v_mul_f16_sdwa v29, v6, v5 dst_sel:DWORD dst_unused:UNUSED_PAD src0_sel:WORD_1 src1_sel:DWORD
	v_fma_f16 v2, v6, v28, -v29
	v_mul_f16_sdwa v3, v6, v28 dst_sel:DWORD dst_unused:UNUSED_PAD src0_sel:WORD_1 src1_sel:DWORD
	ds_write_b32 v0, v1
	v_fma_f16 v3, v6, v5, v3
	s_waitcnt vmcnt(15)
	v_lshrrev_b32_e32 v28, 16, v7
	s_waitcnt vmcnt(14)
	v_mul_f16_sdwa v29, v8, v7 dst_sel:DWORD dst_unused:UNUSED_PAD src0_sel:WORD_1 src1_sel:DWORD
	v_mul_f16_sdwa v1, v8, v28 dst_sel:DWORD dst_unused:UNUSED_PAD src0_sel:WORD_1 src1_sel:DWORD
	v_fma_f16 v0, v8, v28, -v29
	v_fma_f16 v1, v8, v7, v1
	v_pack_b32_f16 v2, v3, v2
	s_waitcnt vmcnt(13)
	v_lshrrev_b32_e32 v5, 16, v9
	s_waitcnt vmcnt(12)
	v_mul_f16_sdwa v6, v10, v9 dst_sel:DWORD dst_unused:UNUSED_PAD src0_sel:WORD_1 src1_sel:DWORD
	v_add_u32_e32 v3, v27, v24
	v_pack_b32_f16 v0, v1, v0
	v_fma_f16 v6, v10, v5, -v6
	v_mul_f16_sdwa v5, v10, v5 dst_sel:DWORD dst_unused:UNUSED_PAD src0_sel:WORD_1 src1_sel:DWORD
	s_waitcnt vmcnt(11)
	v_lshrrev_b32_e32 v1, 16, v11
	ds_write2_b32 v3, v2, v0 offset0:21 offset1:42
	s_waitcnt vmcnt(10)
	v_mul_f16_sdwa v0, v12, v11 dst_sel:DWORD dst_unused:UNUSED_PAD src0_sel:WORD_1 src1_sel:DWORD
	v_mul_f16_sdwa v2, v12, v1 dst_sel:DWORD dst_unused:UNUSED_PAD src0_sel:WORD_1 src1_sel:DWORD
	v_fma_f16 v5, v10, v9, v5
	v_fma_f16 v0, v12, v1, -v0
	v_fma_f16 v1, v12, v11, v2
	v_pack_b32_f16 v2, v5, v6
	v_pack_b32_f16 v0, v1, v0
	ds_write2_b32 v3, v2, v0 offset0:63 offset1:84
	s_waitcnt vmcnt(9)
	v_lshrrev_b32_e32 v0, 16, v15
	s_waitcnt vmcnt(8)
	v_mul_f16_sdwa v1, v13, v0 dst_sel:DWORD dst_unused:UNUSED_PAD src0_sel:WORD_1 src1_sel:DWORD
	v_mul_f16_sdwa v2, v13, v15 dst_sel:DWORD dst_unused:UNUSED_PAD src0_sel:WORD_1 src1_sel:DWORD
	v_fma_f16 v1, v13, v15, v1
	v_fma_f16 v0, v13, v0, -v2
	v_pack_b32_f16 v0, v1, v0
	s_waitcnt vmcnt(7)
	v_lshrrev_b32_e32 v1, 16, v14
	s_waitcnt vmcnt(6)
	v_mul_f16_sdwa v2, v16, v1 dst_sel:DWORD dst_unused:UNUSED_PAD src0_sel:WORD_1 src1_sel:DWORD
	v_mul_f16_sdwa v5, v16, v14 dst_sel:DWORD dst_unused:UNUSED_PAD src0_sel:WORD_1 src1_sel:DWORD
	v_fma_f16 v2, v16, v14, v2
	v_fma_f16 v1, v16, v1, -v5
	v_pack_b32_f16 v1, v2, v1
	ds_write2_b32 v3, v0, v1 offset0:105 offset1:126
	s_waitcnt vmcnt(4)
	v_lshrrev_b32_e32 v0, 16, v18
	v_mul_f16_sdwa v1, v17, v0 dst_sel:DWORD dst_unused:UNUSED_PAD src0_sel:WORD_1 src1_sel:DWORD
	v_mul_f16_sdwa v2, v17, v18 dst_sel:DWORD dst_unused:UNUSED_PAD src0_sel:WORD_1 src1_sel:DWORD
	v_fma_f16 v1, v17, v18, v1
	v_fma_f16 v0, v17, v0, -v2
	v_pack_b32_f16 v0, v1, v0
	s_waitcnt vmcnt(3)
	v_lshrrev_b32_e32 v1, 16, v19
	s_waitcnt vmcnt(2)
	v_mul_f16_sdwa v2, v20, v1 dst_sel:DWORD dst_unused:UNUSED_PAD src0_sel:WORD_1 src1_sel:DWORD
	v_mul_f16_sdwa v5, v20, v19 dst_sel:DWORD dst_unused:UNUSED_PAD src0_sel:WORD_1 src1_sel:DWORD
	v_fma_f16 v2, v20, v19, v2
	v_fma_f16 v1, v20, v1, -v5
	v_pack_b32_f16 v1, v2, v1
	ds_write2_b32 v3, v0, v1 offset0:147 offset1:168
	s_waitcnt vmcnt(1)
	v_lshrrev_b32_e32 v0, 16, v21
	s_waitcnt vmcnt(0)
	v_mul_f16_sdwa v1, v22, v0 dst_sel:DWORD dst_unused:UNUSED_PAD src0_sel:WORD_1 src1_sel:DWORD
	v_mul_f16_sdwa v2, v22, v21 dst_sel:DWORD dst_unused:UNUSED_PAD src0_sel:WORD_1 src1_sel:DWORD
	v_fma_f16 v1, v22, v21, v1
	v_fma_f16 v0, v22, v0, -v2
	v_pack_b32_f16 v0, v1, v0
	ds_write_b32 v3, v0 offset:756
.LBB0_3:
	s_or_b64 exec, exec, s[8:9]
	s_load_dwordx2 s[0:1], s[4:5], 0x20
	s_load_dwordx2 s[14:15], s[4:5], 0x8
	s_waitcnt lgkmcnt(0)
	; wave barrier
	s_waitcnt lgkmcnt(0)
                                        ; implicit-def: $vgpr8
                                        ; implicit-def: $vgpr3
                                        ; implicit-def: $vgpr1
                                        ; implicit-def: $vgpr12
                                        ; implicit-def: $vgpr10
	s_and_saveexec_b64 s[2:3], vcc
	s_cbranch_execz .LBB0_5
; %bb.4:
	v_lshl_add_u32 v5, v26, 2, v24
	ds_read2_b32 v[9:10], v5 offset1:21
	ds_read2_b32 v[11:12], v5 offset0:42 offset1:63
	ds_read2_b32 v[0:1], v5 offset0:84 offset1:105
	ds_read2_b32 v[2:3], v5 offset0:126 offset1:147
	ds_read2_b32 v[7:8], v5 offset0:168 offset1:189
.LBB0_5:
	s_or_b64 exec, exec, s[2:3]
	s_waitcnt lgkmcnt(0)
	v_sub_f16_e32 v5, v11, v0
	v_sub_f16_e32 v6, v7, v2
	v_add_f16_e32 v17, v6, v5
	v_add_f16_e32 v5, v7, v11
	s_movk_i32 s2, 0x3b9c
	v_sub_f16_sdwa v16, v0, v2 dst_sel:DWORD dst_unused:UNUSED_PAD src0_sel:WORD_1 src1_sel:WORD_1
	s_mov_b32 s5, 0xbb9c
	v_fma_f16 v5, v5, -0.5, v9
	v_sub_f16_sdwa v15, v11, v7 dst_sel:DWORD dst_unused:UNUSED_PAD src0_sel:WORD_1 src1_sel:WORD_1
	s_movk_i32 s3, 0x38b4
	s_mov_b32 s8, 0xb8b4
	v_fma_f16 v6, v16, s5, v5
	v_sub_f16_e32 v13, v0, v11
	v_sub_f16_e32 v14, v2, v7
	v_fma_f16 v5, v16, s2, v5
	s_movk_i32 s4, 0x34f2
	v_fma_f16 v6, v15, s3, v6
	v_add_f16_e32 v14, v14, v13
	v_fma_f16 v5, v15, s8, v5
	v_fma_f16 v13, v14, s4, v6
	;; [unrolled: 1-line block ×3, first 2 shown]
	v_add_f16_sdwa v5, v2, v0 dst_sel:DWORD dst_unused:UNUSED_PAD src0_sel:WORD_1 src1_sel:WORD_1
	v_lshrrev_b32_e32 v6, 16, v9
	v_fma_f16 v19, v5, -0.5, v6
	v_sub_f16_sdwa v5, v11, v0 dst_sel:DWORD dst_unused:UNUSED_PAD src0_sel:WORD_1 src1_sel:WORD_1
	v_sub_f16_sdwa v18, v7, v2 dst_sel:DWORD dst_unused:UNUSED_PAD src0_sel:WORD_1 src1_sel:WORD_1
	v_add_f16_e32 v21, v18, v5
	v_add_f16_sdwa v5, v7, v11 dst_sel:DWORD dst_unused:UNUSED_PAD src0_sel:WORD_1 src1_sel:WORD_1
	v_fma_f16 v5, v5, -0.5, v6
	v_sub_f16_sdwa v6, v0, v11 dst_sel:DWORD dst_unused:UNUSED_PAD src0_sel:WORD_1 src1_sel:WORD_1
	v_sub_f16_sdwa v18, v2, v7 dst_sel:DWORD dst_unused:UNUSED_PAD src0_sel:WORD_1 src1_sel:WORD_1
	v_sub_f16_e32 v29, v0, v2
	v_add_f16_e32 v6, v18, v6
	v_sub_f16_e32 v22, v11, v7
	v_fma_f16 v18, v29, s2, v5
	v_fma_f16 v5, v29, s5, v5
	;; [unrolled: 1-line block ×6, first 2 shown]
	v_sub_f16_e32 v5, v8, v3
	v_sub_f16_e32 v6, v12, v1
	v_add_f16_e32 v32, v6, v5
	v_sub_f16_e32 v5, v3, v8
	v_sub_f16_e32 v6, v1, v12
	v_add_f16_e32 v5, v6, v5
	v_add_f16_e32 v6, v12, v8
	v_fma_f16 v6, v6, -0.5, v10
	v_sub_f16_sdwa v34, v1, v3 dst_sel:DWORD dst_unused:UNUSED_PAD src0_sel:WORD_1 src1_sel:WORD_1
	v_sub_f16_sdwa v33, v12, v8 dst_sel:DWORD dst_unused:UNUSED_PAD src0_sel:WORD_1 src1_sel:WORD_1
	v_fma_f16 v23, v34, s5, v6
	v_fma_f16 v6, v34, s2, v6
	;; [unrolled: 1-line block ×6, first 2 shown]
	v_sub_f16_sdwa v6, v12, v1 dst_sel:DWORD dst_unused:UNUSED_PAD src0_sel:WORD_1 src1_sel:WORD_1
	v_sub_f16_sdwa v28, v8, v3 dst_sel:DWORD dst_unused:UNUSED_PAD src0_sel:WORD_1 src1_sel:WORD_1
	v_add_f16_e32 v38, v6, v28
	v_add_f16_sdwa v6, v1, v3 dst_sel:DWORD dst_unused:UNUSED_PAD src0_sel:WORD_1 src1_sel:WORD_1
	v_lshrrev_b32_e32 v28, 16, v10
	v_fma_f16 v36, v6, -0.5, v28
	v_add_f16_sdwa v6, v12, v8 dst_sel:DWORD dst_unused:UNUSED_PAD src0_sel:WORD_1 src1_sel:WORD_1
	v_fma_f16 v6, v6, -0.5, v28
	v_sub_f16_sdwa v28, v1, v12 dst_sel:DWORD dst_unused:UNUSED_PAD src0_sel:WORD_1 src1_sel:WORD_1
	v_sub_f16_sdwa v30, v3, v8 dst_sel:DWORD dst_unused:UNUSED_PAD src0_sel:WORD_1 src1_sel:WORD_1
	v_sub_f16_e32 v43, v1, v3
	v_add_f16_e32 v28, v28, v30
	v_sub_f16_e32 v42, v12, v8
	v_fma_f16 v30, v43, s2, v6
	v_fma_f16 v30, v42, s8, v30
	;; [unrolled: 1-line block ×6, first 2 shown]
	v_mul_f16_e32 v28, 0x3b9c, v30
	v_fma_f16 v35, v23, s4, v28
	v_mul_f16_e32 v23, 0xbb9c, v23
	v_fma_f16 v40, v30, s4, v23
	v_mul_f16_e32 v23, 0x34f2, v5
	v_fma_f16 v39, v6, s2, -v23
	v_mul_f16_e32 v6, 0x34f2, v6
	v_fma_f16 v41, v5, s5, -v6
	v_add_f16_e32 v5, v1, v3
	v_fma_f16 v47, v5, -0.5, v10
	v_fma_f16 v5, v33, s5, v47
	v_fma_f16 v5, v34, s8, v5
	;; [unrolled: 1-line block ×6, first 2 shown]
	v_mul_f16_e32 v23, 0x3a79, v5
	v_fma_f16 v44, v6, s3, -v23
	v_mul_f16_e32 v6, 0x3a79, v6
	v_fma_f16 v45, v5, s8, -v6
	v_add_f16_e32 v5, v2, v0
	v_fma_f16 v48, v5, -0.5, v9
	v_fma_f16 v5, v15, s5, v48
	v_fma_f16 v5, v16, s8, v5
	;; [unrolled: 1-line block ×6, first 2 shown]
	s_movk_i32 s4, 0x3a79
	v_sub_f16_e32 v5, v14, v39
	v_sub_f16_e32 v28, v18, v40
	v_sub_f16_e32 v37, v20, v41
	v_sub_f16_e32 v31, v49, v45
	v_mul_lo_u16_e32 v30, 10, v25
	v_sub_f16_e32 v23, v13, v35
	v_sub_f16_e32 v6, v46, v44
	s_waitcnt lgkmcnt(0)
	; wave barrier
	s_and_saveexec_b64 s[2:3], vcc
	s_cbranch_execz .LBB0_7
; %bb.6:
	v_mul_f16_e32 v22, 0x3b9c, v22
	v_mul_f16_e32 v29, 0x38b4, v29
	v_sub_f16_e32 v19, v19, v22
	v_mul_f16_e32 v21, 0x34f2, v21
	v_mul_f16_e32 v33, 0x3b9c, v33
	;; [unrolled: 1-line block ×3, first 2 shown]
	v_sub_f16_e32 v19, v19, v29
	v_mul_f16_e32 v34, 0x38b4, v34
	v_mul_f16_e32 v43, 0x38b4, v43
	v_add_f16_e32 v19, v21, v19
	v_sub_f16_e32 v21, v36, v42
	v_add_f16_e32 v22, v33, v47
	v_pk_add_f16 v9, v11, v9
	v_mul_f16_e32 v15, 0x3b9c, v15
	v_mul_f16_e32 v32, 0x34f2, v32
	;; [unrolled: 1-line block ×3, first 2 shown]
	v_sub_f16_e32 v21, v21, v43
	v_add_f16_e32 v22, v34, v22
	v_pk_add_f16 v0, v0, v9
	v_mul_f16_e32 v16, 0x38b4, v16
	v_add_f16_e32 v21, v38, v21
	v_add_f16_e32 v22, v32, v22
	v_pk_add_f16 v10, v12, v10
	v_add_f16_e32 v11, v15, v48
	v_pk_add_f16 v0, v2, v0
	v_mul_f16_e32 v17, 0x34f2, v17
	v_mul_f16_e32 v29, 0x38b4, v22
	v_add_f16_e32 v11, v16, v11
	v_mul_f16_e32 v12, 0x38b4, v21
	v_pk_add_f16 v7, v7, v0
	v_pk_add_f16 v0, v1, v10
	v_fma_f16 v29, v21, s4, -v29
	v_add_f16_e32 v11, v17, v11
	v_fma_f16 v12, v22, s4, v12
	v_pk_add_f16 v0, v3, v0
	v_sub_f16_e32 v32, v19, v29
	v_sub_f16_e32 v15, v11, v12
	v_add_f16_e32 v17, v20, v41
	v_add_f16_e32 v18, v18, v40
	v_add_f16_e32 v19, v19, v29
	v_add_f16_e32 v14, v14, v39
	v_add_f16_e32 v13, v13, v35
	v_add_f16_e32 v11, v11, v12
	v_pk_add_f16 v8, v8, v0
	v_add_f16_e32 v16, v49, v45
	v_add_f16_e32 v20, v46, v44
	v_add_lshl_u32 v12, v26, v30, 2
	v_pk_add_f16 v0, v8, v7
	v_pack_b32_f16 v1, v11, v19
	v_pack_b32_f16 v3, v14, v17
	v_pack_b32_f16 v2, v13, v18
	s_mov_b32 s4, 0x5040100
	ds_write2_b64 v12, v[0:1], v[2:3] offset1:1
	v_pk_add_f16 v1, v7, v8 neg_lo:[0,1] neg_hi:[0,1]
	v_pack_b32_f16 v2, v15, v32
	v_perm_b32 v3, v28, v23, s4
	v_pack_b32_f16 v0, v20, v16
	ds_write2_b64 v12, v[0:1], v[2:3] offset0:2 offset1:3
	v_perm_b32 v1, v31, v6, s4
	v_perm_b32 v0, v37, v5, s4
	ds_write_b64 v12, v[0:1] offset:32
.LBB0_7:
	s_or_b64 exec, exec, s[2:3]
	s_load_dwordx4 s[8:11], s[0:1], 0x0
	s_movk_i32 s0, 0xcd
	v_mul_lo_u16_sdwa v0, v25, s0 dst_sel:DWORD dst_unused:UNUSED_PAD src0_sel:BYTE_0 src1_sel:DWORD
	v_lshrrev_b16_e32 v15, 11, v0
	v_mul_lo_u16_e32 v0, 10, v15
	v_sub_u16_e32 v16, v25, v0
	v_mov_b32_e32 v0, 6
	v_mul_u32_u24_sdwa v0, v16, v0 dst_sel:DWORD dst_unused:UNUSED_PAD src0_sel:BYTE_0 src1_sel:DWORD
	v_lshlrev_b32_e32 v9, 2, v0
	s_waitcnt lgkmcnt(0)
	; wave barrier
	s_waitcnt lgkmcnt(0)
	global_load_dwordx4 v[0:3], v9, s[14:15]
	global_load_dwordx2 v[7:8], v9, s[14:15] offset:16
	v_add_lshl_u32 v29, v26, v25, 2
	ds_read2_b32 v[9:10], v29 offset1:30
	ds_read2_b32 v[11:12], v29 offset0:60 offset1:90
	ds_read2_b32 v[13:14], v29 offset0:120 offset1:150
	ds_read_b32 v17, v29 offset:720
	s_movk_i32 s0, 0x2b26
	s_mov_b32 s2, 0xbcab
	s_waitcnt lgkmcnt(3)
	v_lshrrev_b32_e32 v18, 16, v10
	s_waitcnt lgkmcnt(2)
	v_lshrrev_b32_e32 v19, 16, v11
	v_lshrrev_b32_e32 v20, 16, v12
	s_waitcnt lgkmcnt(1)
	v_lshrrev_b32_e32 v21, 16, v13
	v_lshrrev_b32_e32 v22, 16, v14
	s_waitcnt lgkmcnt(0)
	v_lshrrev_b32_e32 v32, 16, v17
	s_movk_i32 s1, 0x3b00
	v_mul_lo_u16_e32 v15, 0x46, v15
	v_and_b32_e32 v15, 0xfe, v15
	v_add_u32_sdwa v15, v15, v16 dst_sel:DWORD dst_unused:UNUSED_PAD src0_sel:DWORD src1_sel:BYTE_0
	s_waitcnt lgkmcnt(0)
	; wave barrier
	s_waitcnt vmcnt(1)
	v_mul_f16_sdwa v33, v18, v0 dst_sel:DWORD dst_unused:UNUSED_PAD src0_sel:DWORD src1_sel:WORD_1
	v_mul_f16_sdwa v34, v10, v0 dst_sel:DWORD dst_unused:UNUSED_PAD src0_sel:DWORD src1_sel:WORD_1
	v_mul_f16_sdwa v35, v19, v1 dst_sel:DWORD dst_unused:UNUSED_PAD src0_sel:DWORD src1_sel:WORD_1
	v_mul_f16_sdwa v36, v11, v1 dst_sel:DWORD dst_unused:UNUSED_PAD src0_sel:DWORD src1_sel:WORD_1
	v_mul_f16_sdwa v38, v20, v2 dst_sel:DWORD dst_unused:UNUSED_PAD src0_sel:DWORD src1_sel:WORD_1
	v_mul_f16_sdwa v39, v12, v2 dst_sel:DWORD dst_unused:UNUSED_PAD src0_sel:DWORD src1_sel:WORD_1
	v_mul_f16_sdwa v40, v21, v3 dst_sel:DWORD dst_unused:UNUSED_PAD src0_sel:DWORD src1_sel:WORD_1
	v_mul_f16_sdwa v41, v13, v3 dst_sel:DWORD dst_unused:UNUSED_PAD src0_sel:DWORD src1_sel:WORD_1
	s_waitcnt vmcnt(0)
	v_mul_f16_sdwa v42, v22, v7 dst_sel:DWORD dst_unused:UNUSED_PAD src0_sel:DWORD src1_sel:WORD_1
	v_mul_f16_sdwa v43, v14, v7 dst_sel:DWORD dst_unused:UNUSED_PAD src0_sel:DWORD src1_sel:WORD_1
	;; [unrolled: 1-line block ×4, first 2 shown]
	v_fma_f16 v10, v10, v0, -v33
	v_fma_f16 v18, v18, v0, v34
	v_fma_f16 v11, v11, v1, -v35
	v_fma_f16 v19, v19, v1, v36
	v_fma_f16 v12, v12, v2, -v38
	v_fma_f16 v20, v20, v2, v39
	v_fma_f16 v13, v13, v3, -v40
	v_fma_f16 v21, v21, v3, v41
	v_fma_f16 v14, v14, v7, -v42
	v_fma_f16 v22, v22, v7, v43
	v_fma_f16 v17, v17, v8, -v44
	v_fma_f16 v32, v32, v8, v45
	v_add_f16_e32 v33, v10, v17
	v_add_f16_e32 v34, v18, v32
	v_sub_f16_e32 v10, v10, v17
	v_sub_f16_e32 v17, v18, v32
	v_add_f16_e32 v18, v11, v14
	v_add_f16_e32 v32, v19, v22
	v_sub_f16_e32 v11, v11, v14
	v_sub_f16_e32 v14, v19, v22
	;; [unrolled: 4-line block ×4, first 2 shown]
	v_sub_f16_e32 v33, v33, v19
	v_sub_f16_e32 v34, v34, v22
	;; [unrolled: 1-line block ×4, first 2 shown]
	v_add_f16_e32 v19, v19, v20
	v_add_f16_e32 v20, v22, v21
	v_mul_f16_e32 v21, 0x3a52, v33
	v_mul_f16_e32 v22, 0x3a52, v34
	;; [unrolled: 1-line block ×4, first 2 shown]
	v_fma_f16 v18, v18, s0, v21
	v_fma_f16 v32, v32, s0, v22
	s_movk_i32 s0, 0x39e0
	v_add_f16_e32 v38, v12, v11
	v_add_f16_e32 v39, v13, v14
	v_sub_f16_e32 v40, v12, v11
	v_sub_f16_e32 v41, v13, v14
	v_fma_f16 v33, v35, s0, -v33
	v_fma_f16 v34, v36, s0, -v34
	s_mov_b32 s0, 0xb9e0
	v_sub_f16_e32 v12, v10, v12
	v_sub_f16_e32 v13, v17, v13
	;; [unrolled: 1-line block ×4, first 2 shown]
	v_add_f16_e32 v10, v38, v10
	v_add_f16_e32 v17, v39, v17
	v_mul_f16_e32 v38, 0xb846, v40
	v_mul_f16_e32 v39, 0xb846, v41
	v_fma_f16 v21, v35, s0, -v21
	v_fma_f16 v22, v36, s0, -v22
	s_movk_i32 s0, 0x3574
	v_mul_f16_e32 v40, 0x3b00, v11
	v_mul_f16_e32 v41, 0x3b00, v14
	v_add_f16_e32 v42, v9, v19
	v_add_f16_sdwa v9, v9, v20 dst_sel:DWORD dst_unused:UNUSED_PAD src0_sel:WORD_1 src1_sel:DWORD
	v_fma_f16 v35, v12, s0, v38
	v_fma_f16 v36, v13, s0, v39
	s_mov_b32 s0, 0xb574
	v_fma_f16 v19, v19, s2, v42
	v_fma_f16 v20, v20, s2, v9
	v_fma_f16 v12, v12, s0, -v40
	v_fma_f16 v13, v13, s0, -v41
	s_movk_i32 s0, 0x370e
	v_fma_f16 v11, v11, s1, -v38
	v_fma_f16 v14, v14, s1, -v39
	v_add_f16_e32 v18, v18, v19
	v_add_f16_e32 v32, v32, v20
	;; [unrolled: 1-line block ×6, first 2 shown]
	v_fma_f16 v21, v10, s0, v35
	v_fma_f16 v22, v17, s0, v36
	;; [unrolled: 1-line block ×6, first 2 shown]
	v_add_f16_e32 v13, v22, v18
	v_sub_f16_e32 v17, v32, v21
	v_add_f16_e32 v35, v12, v19
	v_sub_f16_e32 v36, v20, v10
	v_sub_f16_e32 v38, v33, v14
	v_add_f16_e32 v39, v11, v34
	v_add_f16_e32 v40, v21, v32
	v_add_lshl_u32 v32, v26, v15, 2
	v_pack_b32_f16 v9, v42, v9
	v_pack_b32_f16 v13, v13, v17
	v_add_f16_e32 v14, v14, v33
	v_sub_f16_e32 v11, v34, v11
	v_sub_f16_e32 v12, v19, v12
	v_add_f16_e32 v10, v10, v20
	ds_write2_b32 v32, v9, v13 offset1:10
	v_pack_b32_f16 v9, v35, v36
	v_pack_b32_f16 v13, v38, v39
	v_sub_f16_e32 v22, v18, v22
	ds_write2_b32 v32, v9, v13 offset0:20 offset1:30
	v_pack_b32_f16 v9, v14, v11
	v_pack_b32_f16 v10, v12, v10
	ds_write2_b32 v32, v9, v10 offset0:40 offset1:50
	v_pack_b32_f16 v9, v22, v40
	ds_write_b32 v32, v9 offset:240
	s_waitcnt lgkmcnt(0)
	; wave barrier
	s_waitcnt lgkmcnt(0)
	ds_read2_b32 v[18:19], v29 offset1:30
	ds_read2_b32 v[15:16], v29 offset0:70 offset1:100
	ds_read2_b32 v[20:21], v29 offset0:140 offset1:170
	v_cmp_gt_u16_e64 s[0:1], 10, v25
	s_and_saveexec_b64 s[2:3], s[0:1]
	s_cbranch_execz .LBB0_9
; %bb.8:
	ds_read2_b32 v[22:23], v29 offset0:60 offset1:130
	ds_read_b32 v5, v29 offset:800
	s_waitcnt lgkmcnt(1)
	v_lshrrev_b32_e32 v40, 16, v22
	v_lshrrev_b32_e32 v28, 16, v23
	s_waitcnt lgkmcnt(0)
	v_lshrrev_b32_e32 v37, 16, v5
.LBB0_9:
	s_or_b64 exec, exec, s[2:3]
	v_lshlrev_b32_e32 v9, 3, v25
	global_load_dwordx2 v[11:12], v9, s[14:15] offset:240
	v_add_u32_e32 v9, 0xf0, v9
	global_load_dwordx2 v[13:14], v9, s[14:15] offset:240
	v_add_co_u32_e64 v9, s[2:3], 60, v25
	v_addc_co_u32_e64 v10, s[2:3], 0, 0, s[2:3]
	v_add_co_u32_e64 v17, s[2:3], -10, v25
	v_addc_co_u32_e64 v33, s[2:3], 0, -1, s[2:3]
	v_cndmask_b32_e64 v10, v33, v10, s[0:1]
	v_cndmask_b32_e64 v9, v17, v9, s[0:1]
	v_lshlrev_b64 v[9:10], 3, v[9:10]
	v_mov_b32_e32 v34, s15
	v_add_co_u32_e64 v9, s[2:3], s14, v9
	v_addc_co_u32_e64 v10, s[2:3], v34, v10, s[2:3]
	global_load_dwordx2 v[9:10], v[9:10], off offset:240
	s_waitcnt lgkmcnt(1)
	v_lshrrev_b32_e32 v33, 16, v15
	s_waitcnt lgkmcnt(0)
	v_lshrrev_b32_e32 v34, 16, v20
	v_lshrrev_b32_e32 v35, 16, v16
	;; [unrolled: 1-line block ×5, first 2 shown]
	s_movk_i32 s2, 0x3aee
	s_mov_b32 s3, 0xbaee
	s_waitcnt vmcnt(2)
	v_mul_f16_sdwa v39, v33, v11 dst_sel:DWORD dst_unused:UNUSED_PAD src0_sel:DWORD src1_sel:WORD_1
	v_mul_f16_sdwa v41, v15, v11 dst_sel:DWORD dst_unused:UNUSED_PAD src0_sel:DWORD src1_sel:WORD_1
	v_mul_f16_sdwa v42, v34, v12 dst_sel:DWORD dst_unused:UNUSED_PAD src0_sel:DWORD src1_sel:WORD_1
	v_mul_f16_sdwa v43, v20, v12 dst_sel:DWORD dst_unused:UNUSED_PAD src0_sel:DWORD src1_sel:WORD_1
	v_fma_f16 v15, v15, v11, -v39
	v_fma_f16 v33, v33, v11, v41
	v_fma_f16 v20, v20, v12, -v42
	v_fma_f16 v34, v34, v12, v43
	s_waitcnt vmcnt(1)
	v_mul_f16_sdwa v39, v35, v13 dst_sel:DWORD dst_unused:UNUSED_PAD src0_sel:DWORD src1_sel:WORD_1
	v_mul_f16_sdwa v41, v16, v13 dst_sel:DWORD dst_unused:UNUSED_PAD src0_sel:DWORD src1_sel:WORD_1
	;; [unrolled: 1-line block ×4, first 2 shown]
	v_fma_f16 v16, v16, v13, -v39
	v_fma_f16 v35, v35, v13, v41
	v_fma_f16 v21, v21, v14, -v42
	v_add_f16_e32 v39, v18, v15
	v_add_f16_e32 v41, v15, v20
	;; [unrolled: 1-line block ×3, first 2 shown]
	v_fma_f16 v36, v36, v14, v43
	v_sub_f16_e32 v42, v33, v34
	v_add_f16_e32 v43, v17, v33
	v_sub_f16_e32 v45, v15, v20
	v_add_f16_e32 v15, v39, v20
	v_fma_f16 v18, v41, -0.5, v18
	v_fma_f16 v20, v44, -0.5, v17
	v_add_f16_e32 v41, v16, v21
	s_waitcnt vmcnt(0)
	v_mul_f16_sdwa v49, v23, v9 dst_sel:DWORD dst_unused:UNUSED_PAD src0_sel:DWORD src1_sel:WORD_1
	v_mul_f16_sdwa v51, v5, v10 dst_sel:DWORD dst_unused:UNUSED_PAD src0_sel:DWORD src1_sel:WORD_1
	v_add_f16_e32 v33, v43, v34
	v_add_f16_e32 v39, v19, v16
	v_sub_f16_e32 v43, v35, v36
	v_add_f16_e32 v44, v38, v35
	v_add_f16_e32 v46, v35, v36
	v_sub_f16_e32 v47, v16, v21
	v_mul_f16_sdwa v48, v28, v9 dst_sel:DWORD dst_unused:UNUSED_PAD src0_sel:DWORD src1_sel:WORD_1
	v_mul_f16_sdwa v50, v37, v10 dst_sel:DWORD dst_unused:UNUSED_PAD src0_sel:DWORD src1_sel:WORD_1
	v_fma_f16 v16, v42, s2, v18
	v_fma_f16 v17, v42, s3, v18
	;; [unrolled: 1-line block ×4, first 2 shown]
	v_fma_f16 v20, v41, -0.5, v19
	v_fma_f16 v28, v28, v9, v49
	v_fma_f16 v42, v37, v10, v51
	v_add_f16_e32 v36, v44, v36
	v_fma_f16 v23, v23, v9, -v48
	v_fma_f16 v41, v5, v10, -v50
	v_fma_f16 v19, v43, s2, v20
	v_fma_f16 v20, v43, s3, v20
	v_sub_f16_e32 v43, v28, v42
	v_add_f16_e32 v44, v40, v28
	v_add_f16_e32 v28, v28, v42
	;; [unrolled: 1-line block ×3, first 2 shown]
	v_fma_f16 v21, v46, -0.5, v38
	v_add_f16_e32 v5, v22, v23
	v_add_f16_e32 v39, v23, v41
	v_fma_f16 v28, v28, -0.5, v40
	v_sub_f16_e32 v23, v23, v41
	v_fma_f16 v38, v47, s3, v21
	v_fma_f16 v37, v47, s2, v21
	v_add_f16_e32 v21, v5, v41
	v_fma_f16 v5, v39, -0.5, v22
	v_add_f16_e32 v39, v44, v42
	v_fma_f16 v40, v23, s3, v28
	v_fma_f16 v41, v23, s2, v28
	v_lshl_add_u32 v28, v25, 2, v27
	v_pack_b32_f16 v23, v15, v33
	v_pack_b32_f16 v44, v18, v36
	v_pack_b32_f16 v42, v16, v34
	ds_write2_b32 v28, v23, v44 offset1:30
	v_pack_b32_f16 v23, v19, v38
	v_fma_f16 v22, v43, s2, v5
	v_fma_f16 v5, v43, s3, v5
	v_pack_b32_f16 v43, v17, v35
	ds_write2_b32 v28, v42, v23 offset0:70 offset1:100
	v_pack_b32_f16 v23, v20, v37
	ds_write2_b32 v28, v43, v23 offset0:140 offset1:170
	s_and_saveexec_b64 s[2:3], s[0:1]
	s_cbranch_execz .LBB0_11
; %bb.10:
	s_mov_b32 s4, 0x5040100
	v_perm_b32 v23, v39, v21, s4
	v_perm_b32 v42, v40, v22, s4
	ds_write2_b32 v28, v23, v42 offset0:60 offset1:130
	v_perm_b32 v23, v41, v5, s4
	ds_write_b32 v28, v23 offset:800
.LBB0_11:
	s_or_b64 exec, exec, s[2:3]
	s_waitcnt lgkmcnt(0)
	; wave barrier
	s_waitcnt lgkmcnt(0)
	s_and_saveexec_b64 s[2:3], vcc
	s_cbranch_execz .LBB0_13
; %bb.12:
	global_load_dword v44, v24, s[6:7] offset:840
	ds_read2_b32 v[42:43], v28 offset1:21
	s_add_u32 s4, s6, 0x348
	s_addc_u32 s5, s7, 0
	s_waitcnt lgkmcnt(0)
	v_lshrrev_b32_e32 v23, 16, v42
	s_waitcnt vmcnt(0)
	v_mul_f16_sdwa v45, v23, v44 dst_sel:DWORD dst_unused:UNUSED_PAD src0_sel:DWORD src1_sel:WORD_1
	v_fma_f16 v45, v42, v44, -v45
	v_mul_f16_sdwa v42, v42, v44 dst_sel:DWORD dst_unused:UNUSED_PAD src0_sel:DWORD src1_sel:WORD_1
	v_fma_f16 v23, v23, v44, v42
	global_load_dword v44, v24, s[4:5] offset:84
	v_lshrrev_b32_e32 v42, 16, v43
	v_pack_b32_f16 v23, v45, v23
	s_waitcnt vmcnt(0)
	v_mul_f16_sdwa v45, v42, v44 dst_sel:DWORD dst_unused:UNUSED_PAD src0_sel:DWORD src1_sel:WORD_1
	v_fma_f16 v45, v43, v44, -v45
	v_mul_f16_sdwa v43, v43, v44 dst_sel:DWORD dst_unused:UNUSED_PAD src0_sel:DWORD src1_sel:WORD_1
	v_fma_f16 v42, v42, v44, v43
	global_load_dword v44, v24, s[4:5] offset:168
	v_pack_b32_f16 v42, v45, v42
	ds_write2_b32 v28, v23, v42 offset1:21
	ds_read2_b32 v[42:43], v28 offset0:42 offset1:63
	s_waitcnt lgkmcnt(0)
	v_lshrrev_b32_e32 v23, 16, v42
	s_waitcnt vmcnt(0)
	v_mul_f16_sdwa v45, v23, v44 dst_sel:DWORD dst_unused:UNUSED_PAD src0_sel:DWORD src1_sel:WORD_1
	v_fma_f16 v45, v42, v44, -v45
	v_mul_f16_sdwa v42, v42, v44 dst_sel:DWORD dst_unused:UNUSED_PAD src0_sel:DWORD src1_sel:WORD_1
	v_fma_f16 v23, v23, v44, v42
	global_load_dword v44, v24, s[4:5] offset:252
	v_lshrrev_b32_e32 v42, 16, v43
	v_pack_b32_f16 v23, v45, v23
	s_waitcnt vmcnt(0)
	v_mul_f16_sdwa v45, v42, v44 dst_sel:DWORD dst_unused:UNUSED_PAD src0_sel:DWORD src1_sel:WORD_1
	v_fma_f16 v45, v43, v44, -v45
	v_mul_f16_sdwa v43, v43, v44 dst_sel:DWORD dst_unused:UNUSED_PAD src0_sel:DWORD src1_sel:WORD_1
	v_fma_f16 v42, v42, v44, v43
	global_load_dword v44, v24, s[4:5] offset:336
	v_pack_b32_f16 v42, v45, v42
	ds_write2_b32 v28, v23, v42 offset0:42 offset1:63
	ds_read2_b32 v[42:43], v28 offset0:84 offset1:105
	s_waitcnt lgkmcnt(0)
	v_lshrrev_b32_e32 v23, 16, v42
	s_waitcnt vmcnt(0)
	v_mul_f16_sdwa v45, v23, v44 dst_sel:DWORD dst_unused:UNUSED_PAD src0_sel:DWORD src1_sel:WORD_1
	v_fma_f16 v45, v42, v44, -v45
	v_mul_f16_sdwa v42, v42, v44 dst_sel:DWORD dst_unused:UNUSED_PAD src0_sel:DWORD src1_sel:WORD_1
	v_fma_f16 v23, v23, v44, v42
	global_load_dword v44, v24, s[4:5] offset:420
	v_lshrrev_b32_e32 v42, 16, v43
	v_pack_b32_f16 v23, v45, v23
	s_waitcnt vmcnt(0)
	v_mul_f16_sdwa v45, v42, v44 dst_sel:DWORD dst_unused:UNUSED_PAD src0_sel:DWORD src1_sel:WORD_1
	v_fma_f16 v45, v43, v44, -v45
	v_mul_f16_sdwa v43, v43, v44 dst_sel:DWORD dst_unused:UNUSED_PAD src0_sel:DWORD src1_sel:WORD_1
	v_fma_f16 v42, v42, v44, v43
	global_load_dword v44, v24, s[4:5] offset:504
	v_pack_b32_f16 v42, v45, v42
	ds_write2_b32 v28, v23, v42 offset0:84 offset1:105
	;; [unrolled: 19-line block ×3, first 2 shown]
	ds_read2_b32 v[42:43], v28 offset0:168 offset1:189
	s_waitcnt lgkmcnt(0)
	v_lshrrev_b32_e32 v23, 16, v42
	s_waitcnt vmcnt(0)
	v_mul_f16_sdwa v45, v23, v44 dst_sel:DWORD dst_unused:UNUSED_PAD src0_sel:DWORD src1_sel:WORD_1
	v_fma_f16 v45, v42, v44, -v45
	v_mul_f16_sdwa v42, v42, v44 dst_sel:DWORD dst_unused:UNUSED_PAD src0_sel:DWORD src1_sel:WORD_1
	v_fma_f16 v23, v23, v44, v42
	global_load_dword v44, v24, s[4:5] offset:756
	v_lshrrev_b32_e32 v42, 16, v43
	v_pack_b32_f16 v23, v45, v23
	s_waitcnt vmcnt(0)
	v_mul_f16_sdwa v45, v42, v44 dst_sel:DWORD dst_unused:UNUSED_PAD src0_sel:DWORD src1_sel:WORD_1
	v_fma_f16 v45, v43, v44, -v45
	v_mul_f16_sdwa v43, v43, v44 dst_sel:DWORD dst_unused:UNUSED_PAD src0_sel:DWORD src1_sel:WORD_1
	v_fma_f16 v42, v42, v44, v43
	v_pack_b32_f16 v42, v45, v42
	ds_write2_b32 v28, v23, v42 offset0:168 offset1:189
.LBB0_13:
	s_or_b64 exec, exec, s[2:3]
	s_waitcnt lgkmcnt(0)
	; wave barrier
	s_waitcnt lgkmcnt(0)
	s_and_saveexec_b64 s[2:3], vcc
	s_cbranch_execz .LBB0_15
; %bb.14:
	ds_read2_b32 v[15:16], v28 offset1:21
	ds_read2_b32 v[17:18], v28 offset0:42 offset1:63
	ds_read2_b32 v[19:20], v28 offset0:84 offset1:105
	;; [unrolled: 1-line block ×4, first 2 shown]
	s_waitcnt lgkmcnt(4)
	v_lshrrev_b32_e32 v33, 16, v15
	v_lshrrev_b32_e32 v34, 16, v16
	s_waitcnt lgkmcnt(3)
	v_lshrrev_b32_e32 v35, 16, v17
	v_lshrrev_b32_e32 v36, 16, v18
	;; [unrolled: 3-line block ×5, first 2 shown]
.LBB0_15:
	s_or_b64 exec, exec, s[2:3]
	v_add_f16_e32 v23, v5, v17
	v_sub_f16_e32 v48, v38, v39
	v_fma_f16 v23, v23, -0.5, v15
	s_movk_i32 s14, 0x3b9c
	s_mov_b32 s15, 0xbb9c
	v_sub_f16_e32 v47, v35, v41
	v_fma_f16 v42, v48, s14, v23
	v_sub_f16_e32 v43, v19, v17
	v_sub_f16_e32 v44, v21, v5
	v_fma_f16 v23, v48, s15, v23
	s_movk_i32 s16, 0x38b4
	v_add_f16_e32 v43, v44, v43
	s_movk_i32 s5, 0x34f2
	v_fma_f16 v23, v47, s16, v23
	s_mov_b32 s4, 0xb8b4
	v_fma_f16 v46, v43, s5, v23
	v_add_f16_e32 v23, v41, v35
	v_fma_f16 v42, v47, s4, v42
	v_sub_f16_e32 v55, v19, v21
	v_fma_f16 v23, v23, -0.5, v33
	v_fma_f16 v45, v43, s5, v42
	v_sub_f16_e32 v56, v17, v5
	v_fma_f16 v42, v55, s15, v23
	v_sub_f16_e32 v43, v38, v35
	v_sub_f16_e32 v44, v39, v41
	v_fma_f16 v23, v55, s14, v23
	v_add_f16_e32 v43, v44, v43
	v_fma_f16 v23, v56, s4, v23
	v_fma_f16 v50, v43, s5, v23
	v_add_f16_e32 v23, v18, v6
	v_fma_f16 v42, v56, s16, v42
	v_sub_f16_e32 v58, v37, v40
	v_fma_f16 v23, v23, -0.5, v16
	v_fma_f16 v49, v43, s5, v42
	v_sub_f16_e32 v57, v36, v31
	v_fma_f16 v42, v58, s14, v23
	v_sub_f16_e32 v43, v20, v18
	v_sub_f16_e32 v44, v22, v6
	v_fma_f16 v23, v58, s15, v23
	v_fma_f16 v42, v57, s4, v42
	v_add_f16_e32 v43, v43, v44
	v_fma_f16 v23, v57, s16, v23
	v_fma_f16 v42, v43, s5, v42
	;; [unrolled: 1-line block ×3, first 2 shown]
	v_add_f16_e32 v43, v36, v31
	v_sub_f16_e32 v60, v20, v22
	v_fma_f16 v43, v43, -0.5, v34
	v_sub_f16_e32 v59, v18, v6
	v_fma_f16 v44, v60, s15, v43
	v_sub_f16_e32 v51, v37, v36
	v_sub_f16_e32 v52, v40, v31
	v_fma_f16 v44, v59, s16, v44
	v_add_f16_e32 v51, v51, v52
	v_fma_f16 v43, v60, s14, v43
	v_fma_f16 v44, v51, s5, v44
	;; [unrolled: 1-line block ×4, first 2 shown]
	v_mul_f16_e32 v51, 0xbb9c, v44
	v_mul_f16_e32 v44, 0x34f2, v44
	v_fma_f16 v51, v42, s5, v51
	v_mul_f16_e32 v52, 0xbb9c, v43
	s_mov_b32 s2, 0xb4f2
	v_fma_f16 v53, v42, s14, v44
	v_mul_f16_e32 v42, 0xb4f2, v43
	v_fma_f16 v52, v23, s2, v52
	v_fma_f16 v54, v23, s14, v42
	v_sub_f16_e32 v23, v45, v51
	v_sub_f16_e32 v42, v46, v52
	;; [unrolled: 1-line block ×4, first 2 shown]
	s_waitcnt lgkmcnt(0)
	; wave barrier
	s_and_saveexec_b64 s[2:3], vcc
	s_cbranch_execz .LBB0_17
; %bb.16:
	v_sub_f16_e32 v61, v35, v38
	v_sub_f16_e32 v62, v41, v39
	;; [unrolled: 1-line block ×4, first 2 shown]
	v_add_f16_e32 v61, v62, v61
	v_add_f16_e32 v62, v39, v38
	;; [unrolled: 1-line block ×4, first 2 shown]
	v_fma_f16 v62, v62, -0.5, v33
	v_fma_f16 v68, v68, -0.5, v34
	v_add_f16_e32 v33, v35, v33
	v_add_f16_e32 v34, v36, v34
	v_sub_f16_e32 v35, v17, v19
	v_sub_f16_e32 v36, v5, v21
	;; [unrolled: 1-line block ×4, first 2 shown]
	v_add_f16_e32 v35, v36, v35
	v_add_f16_e32 v36, v21, v19
	;; [unrolled: 1-line block ×4, first 2 shown]
	v_fma_f16 v36, v36, -0.5, v15
	v_add_f16_e32 v15, v17, v15
	v_fma_f16 v63, v56, s15, v62
	v_fma_f16 v65, v65, -0.5, v16
	v_fma_f16 v56, v56, s14, v62
	v_add_f16_e32 v15, v19, v15
	v_fma_f16 v63, v55, s4, v63
	v_fma_f16 v66, v57, s14, v65
	;; [unrolled: 1-line block ×5, first 2 shown]
	v_add_f16_e32 v15, v21, v15
	v_fma_f16 v69, v59, s15, v68
	v_fma_f16 v57, v60, s16, v57
	v_add_f16_e32 v34, v37, v34
	v_fma_f16 v37, v47, s14, v36
	v_fma_f16 v36, v47, s15, v36
	v_add_f16_e32 v5, v5, v15
	v_add_f16_e32 v15, v18, v16
	v_fma_f16 v69, v60, s4, v69
	v_fma_f16 v56, v58, s4, v56
	;; [unrolled: 1-line block ×3, first 2 shown]
	v_add_f16_e32 v33, v38, v33
	v_fma_f16 v37, v48, s16, v37
	v_fma_f16 v36, v48, s4, v36
	v_add_f16_e32 v15, v20, v15
	v_fma_f16 v66, v58, s16, v66
	v_fma_f16 v69, v67, s5, v69
	;; [unrolled: 1-line block ×3, first 2 shown]
	s_movk_i32 s18, 0x3a79
	v_mul_f16_e32 v58, 0x3a79, v57
	v_add_f16_e32 v33, v39, v33
	v_add_f16_e32 v34, v40, v34
	v_fma_f16 v37, v35, s5, v37
	v_fma_f16 v35, v35, s5, v36
	v_mul_f16_e32 v36, 0xb8b4, v57
	v_add_f16_e32 v15, v22, v15
	v_fma_f16 v66, v64, s5, v66
	s_mov_b32 s17, 0xba79
	v_mul_f16_e32 v70, 0xba79, v69
	v_fma_f16 v55, v61, s5, v55
	v_fma_f16 v58, v56, s16, v58
	v_add_f16_e32 v33, v41, v33
	v_add_f16_e32 v31, v31, v34
	v_mul_f16_e32 v38, 0xb8b4, v69
	v_fma_f16 v36, v56, s18, v36
	v_add_f16_e32 v6, v6, v15
	v_fma_f16 v63, v61, s5, v63
	v_fma_f16 v70, v66, s16, v70
	v_sub_f16_e32 v34, v33, v31
	v_fma_f16 v38, v66, s17, v38
	v_sub_f16_e32 v17, v5, v6
	v_add_f16_e32 v15, v50, v54
	v_add_f16_e32 v19, v49, v53
	;; [unrolled: 1-line block ×8, first 2 shown]
	v_sub_f16_e32 v59, v55, v58
	v_sub_f16_e32 v40, v35, v36
	v_add_f16_e32 v18, v63, v70
	v_add_f16_e32 v21, v37, v38
	v_lshl_add_u32 v27, v30, 2, v27
	v_pack_b32_f16 v6, v33, v16
	v_pack_b32_f16 v5, v5, v20
	;; [unrolled: 1-line block ×4, first 2 shown]
	s_mov_b32 s4, 0x5040100
	v_sub_f16_e32 v62, v63, v70
	v_sub_f16_e32 v39, v37, v38
	ds_write2_b64 v27, v[5:6], v[15:16] offset1:1
	v_pack_b32_f16 v5, v40, v59
	v_pack_b32_f16 v15, v21, v18
	;; [unrolled: 1-line block ×3, first 2 shown]
	v_perm_b32 v6, v43, v23, s4
	ds_write2_b64 v27, v[15:16], v[5:6] offset0:2 offset1:3
	v_pack_b32_f16 v6, v39, v62
	v_perm_b32 v5, v44, v42, s4
	ds_write_b64 v27, v[5:6] offset:32
.LBB0_17:
	s_or_b64 exec, exec, s[2:3]
	s_waitcnt lgkmcnt(0)
	; wave barrier
	s_waitcnt lgkmcnt(0)
	ds_read2_b32 v[5:6], v29 offset1:30
	ds_read2_b32 v[15:16], v29 offset0:60 offset1:90
	ds_read2_b32 v[17:18], v29 offset0:120 offset1:150
	ds_read_b32 v20, v29 offset:720
	s_movk_i32 s2, 0x2b26
	s_waitcnt lgkmcnt(3)
	v_lshrrev_b32_e32 v19, 16, v6
	v_mul_f16_sdwa v33, v0, v19 dst_sel:DWORD dst_unused:UNUSED_PAD src0_sel:WORD_1 src1_sel:DWORD
	s_waitcnt lgkmcnt(2)
	v_lshrrev_b32_e32 v21, 16, v15
	v_fma_f16 v33, v0, v6, v33
	v_mul_f16_sdwa v6, v0, v6 dst_sel:DWORD dst_unused:UNUSED_PAD src0_sel:WORD_1 src1_sel:DWORD
	v_fma_f16 v0, v0, v19, -v6
	v_mul_f16_sdwa v6, v1, v21 dst_sel:DWORD dst_unused:UNUSED_PAD src0_sel:WORD_1 src1_sel:DWORD
	v_lshrrev_b32_e32 v22, 16, v16
	v_fma_f16 v6, v1, v15, v6
	v_mul_f16_sdwa v15, v1, v15 dst_sel:DWORD dst_unused:UNUSED_PAD src0_sel:WORD_1 src1_sel:DWORD
	v_fma_f16 v1, v1, v21, -v15
	v_mul_f16_sdwa v15, v2, v22 dst_sel:DWORD dst_unused:UNUSED_PAD src0_sel:WORD_1 src1_sel:DWORD
	s_waitcnt lgkmcnt(1)
	v_lshrrev_b32_e32 v27, 16, v17
	v_fma_f16 v15, v2, v16, v15
	v_mul_f16_sdwa v16, v2, v16 dst_sel:DWORD dst_unused:UNUSED_PAD src0_sel:WORD_1 src1_sel:DWORD
	v_fma_f16 v2, v2, v22, -v16
	v_mul_f16_sdwa v16, v3, v27 dst_sel:DWORD dst_unused:UNUSED_PAD src0_sel:WORD_1 src1_sel:DWORD
	v_lshrrev_b32_e32 v30, 16, v18
	v_fma_f16 v16, v3, v17, v16
	v_mul_f16_sdwa v17, v3, v17 dst_sel:DWORD dst_unused:UNUSED_PAD src0_sel:WORD_1 src1_sel:DWORD
	v_fma_f16 v3, v3, v27, -v17
	v_mul_f16_sdwa v17, v7, v30 dst_sel:DWORD dst_unused:UNUSED_PAD src0_sel:WORD_1 src1_sel:DWORD
	s_waitcnt lgkmcnt(0)
	v_lshrrev_b32_e32 v31, 16, v20
	v_fma_f16 v17, v7, v18, v17
	v_mul_f16_sdwa v18, v7, v18 dst_sel:DWORD dst_unused:UNUSED_PAD src0_sel:WORD_1 src1_sel:DWORD
	v_fma_f16 v7, v7, v30, -v18
	v_mul_f16_sdwa v18, v8, v31 dst_sel:DWORD dst_unused:UNUSED_PAD src0_sel:WORD_1 src1_sel:DWORD
	v_mul_f16_sdwa v19, v8, v20 dst_sel:DWORD dst_unused:UNUSED_PAD src0_sel:WORD_1 src1_sel:DWORD
	v_fma_f16 v18, v8, v20, v18
	v_fma_f16 v8, v8, v31, -v19
	v_add_f16_e32 v19, v33, v18
	v_add_f16_e32 v20, v0, v8
	v_sub_f16_e32 v0, v0, v8
	v_add_f16_e32 v8, v6, v17
	v_add_f16_e32 v21, v1, v7
	v_sub_f16_e32 v6, v6, v17
	v_sub_f16_e32 v1, v1, v7
	v_add_f16_e32 v7, v15, v16
	v_add_f16_e32 v17, v2, v3
	v_sub_f16_e32 v15, v16, v15
	v_sub_f16_e32 v18, v33, v18
	;; [unrolled: 1-line block ×3, first 2 shown]
	v_add_f16_e32 v3, v8, v19
	v_add_f16_e32 v16, v21, v20
	v_sub_f16_e32 v22, v8, v19
	v_sub_f16_e32 v27, v21, v20
	;; [unrolled: 1-line block ×4, first 2 shown]
	v_add_f16_e32 v30, v15, v6
	v_sub_f16_e32 v8, v7, v8
	v_sub_f16_e32 v21, v17, v21
	;; [unrolled: 1-line block ×5, first 2 shown]
	v_add_f16_e32 v3, v7, v3
	v_add_f16_e32 v7, v17, v16
	;; [unrolled: 1-line block ×3, first 2 shown]
	v_mul_f16_e32 v18, 0x3a52, v19
	v_mul_f16_e32 v19, 0x3a52, v20
	;; [unrolled: 1-line block ×4, first 2 shown]
	v_fma_f16 v8, v8, s2, v18
	v_fma_f16 v21, v21, s2, v19
	s_movk_i32 s2, 0x39e0
	v_add_f16_e32 v31, v2, v1
	v_sub_f16_e32 v34, v2, v1
	v_fma_f16 v20, v22, s2, -v20
	v_fma_f16 v30, v27, s2, -v30
	s_mov_b32 s2, 0xb9e0
	v_sub_f16_e32 v2, v0, v2
	v_sub_f16_e32 v1, v1, v0
	v_add_f16_e32 v0, v31, v0
	v_mul_f16_e32 v31, 0x3846, v33
	v_mul_f16_e32 v33, 0x3846, v34
	v_fma_f16 v18, v22, s2, -v18
	v_fma_f16 v19, v27, s2, -v19
	s_mov_b32 s2, 0xb574
	v_add_f16_e32 v17, v5, v3
	v_add_f16_sdwa v5, v5, v7 dst_sel:DWORD dst_unused:UNUSED_PAD src0_sel:WORD_1 src1_sel:DWORD
	s_mov_b32 s3, 0xbb00
	v_mul_f16_e32 v34, 0xbb00, v6
	v_mul_f16_e32 v35, 0xbb00, v1
	s_mov_b32 s4, 0xbcab
	v_fma_f16 v22, v15, s2, v31
	v_fma_f16 v27, v2, s2, v33
	s_movk_i32 s2, 0x3574
	v_fma_f16 v3, v3, s4, v17
	v_fma_f16 v7, v7, s4, v5
	v_fma_f16 v6, v6, s3, -v31
	v_fma_f16 v1, v1, s3, -v33
	;; [unrolled: 1-line block ×4, first 2 shown]
	s_mov_b32 s2, 0xb70e
	v_add_f16_e32 v8, v8, v3
	v_add_f16_e32 v21, v21, v7
	;; [unrolled: 1-line block ×6, first 2 shown]
	v_fma_f16 v18, v16, s2, v22
	v_fma_f16 v19, v0, s2, v27
	;; [unrolled: 1-line block ×6, first 2 shown]
	v_add_f16_e32 v2, v19, v8
	v_sub_f16_e32 v16, v21, v18
	v_add_f16_e32 v27, v0, v3
	v_sub_f16_e32 v33, v20, v1
	v_add_f16_e32 v34, v6, v30
	v_add_f16_e32 v1, v1, v20
	v_sub_f16_e32 v6, v30, v6
	v_sub_f16_e32 v0, v3, v0
	v_add_f16_e32 v3, v15, v7
	v_sub_f16_e32 v31, v7, v15
	v_sub_f16_e32 v22, v8, v19
	v_add_f16_e32 v7, v18, v21
	v_pack_b32_f16 v5, v17, v5
	v_pack_b32_f16 v2, v2, v16
	;; [unrolled: 1-line block ×4, first 2 shown]
	s_waitcnt lgkmcnt(0)
	; wave barrier
	ds_write2_b32 v32, v5, v2 offset1:10
	v_pack_b32_f16 v2, v27, v31
	v_pack_b32_f16 v5, v33, v34
	ds_write2_b32 v32, v1, v0 offset0:40 offset1:50
	v_pack_b32_f16 v0, v22, v7
	ds_write2_b32 v32, v2, v5 offset0:20 offset1:30
	ds_write_b32 v32, v0 offset:240
	s_waitcnt lgkmcnt(0)
	; wave barrier
	s_waitcnt lgkmcnt(0)
	ds_read2_b32 v[0:1], v29 offset1:30
	ds_read2_b32 v[5:6], v29 offset0:70 offset1:100
	ds_read2_b32 v[2:3], v29 offset0:140 offset1:170
	s_and_saveexec_b64 s[2:3], s[0:1]
	s_cbranch_execz .LBB0_19
; %bb.18:
	ds_read2_b32 v[22:23], v29 offset0:60 offset1:130
	ds_read_b32 v42, v29 offset:800
	s_waitcnt lgkmcnt(1)
	v_lshrrev_b32_e32 v7, 16, v22
	v_lshrrev_b32_e32 v43, 16, v23
	s_waitcnt lgkmcnt(0)
	v_lshrrev_b32_e32 v44, 16, v42
.LBB0_19:
	s_or_b64 exec, exec, s[2:3]
	s_waitcnt lgkmcnt(1)
	v_lshrrev_b32_e32 v15, 16, v5
	v_mul_f16_sdwa v20, v11, v15 dst_sel:DWORD dst_unused:UNUSED_PAD src0_sel:WORD_1 src1_sel:DWORD
	s_waitcnt lgkmcnt(0)
	v_lshrrev_b32_e32 v16, 16, v2
	v_fma_f16 v20, v11, v5, v20
	v_mul_f16_sdwa v5, v11, v5 dst_sel:DWORD dst_unused:UNUSED_PAD src0_sel:WORD_1 src1_sel:DWORD
	v_fma_f16 v5, v11, v15, -v5
	v_mul_f16_sdwa v11, v12, v16 dst_sel:DWORD dst_unused:UNUSED_PAD src0_sel:WORD_1 src1_sel:DWORD
	v_lshrrev_b32_e32 v18, 16, v6
	v_fma_f16 v11, v12, v2, v11
	v_mul_f16_sdwa v2, v12, v2 dst_sel:DWORD dst_unused:UNUSED_PAD src0_sel:WORD_1 src1_sel:DWORD
	v_fma_f16 v2, v12, v16, -v2
	v_mul_f16_sdwa v12, v13, v18 dst_sel:DWORD dst_unused:UNUSED_PAD src0_sel:WORD_1 src1_sel:DWORD
	v_lshrrev_b32_e32 v19, 16, v3
	v_fma_f16 v12, v13, v6, v12
	v_mul_f16_sdwa v6, v13, v6 dst_sel:DWORD dst_unused:UNUSED_PAD src0_sel:WORD_1 src1_sel:DWORD
	v_fma_f16 v6, v13, v18, -v6
	v_mul_f16_sdwa v13, v14, v19 dst_sel:DWORD dst_unused:UNUSED_PAD src0_sel:WORD_1 src1_sel:DWORD
	v_fma_f16 v13, v14, v3, v13
	v_mul_f16_sdwa v3, v14, v3 dst_sel:DWORD dst_unused:UNUSED_PAD src0_sel:WORD_1 src1_sel:DWORD
	v_add_f16_e32 v15, v20, v11
	v_lshrrev_b32_e32 v8, 16, v0
	v_fma_f16 v3, v14, v19, -v3
	v_add_f16_e32 v14, v0, v20
	v_fma_f16 v0, v15, -0.5, v0
	v_sub_f16_e32 v15, v5, v2
	s_mov_b32 s4, 0xbaee
	s_movk_i32 s5, 0x3aee
	v_fma_f16 v16, v15, s4, v0
	v_fma_f16 v0, v15, s5, v0
	v_add_f16_e32 v15, v8, v5
	v_add_f16_e32 v15, v15, v2
	;; [unrolled: 1-line block ×4, first 2 shown]
	v_fma_f16 v2, v2, -0.5, v8
	v_sub_f16_e32 v5, v20, v11
	v_add_f16_e32 v11, v12, v13
	v_lshrrev_b32_e32 v17, 16, v1
	v_fma_f16 v8, v5, s5, v2
	v_fma_f16 v2, v5, s4, v2
	v_add_f16_e32 v5, v1, v12
	v_fma_f16 v1, v11, -0.5, v1
	v_sub_f16_e32 v11, v6, v3
	v_fma_f16 v18, v11, s4, v1
	v_fma_f16 v1, v11, s5, v1
	v_add_f16_e32 v11, v17, v6
	v_add_f16_e32 v11, v11, v3
	;; [unrolled: 1-line block ×4, first 2 shown]
	v_fma_f16 v3, v3, -0.5, v17
	v_sub_f16_e32 v6, v12, v13
	v_fma_f16 v12, v6, s5, v3
	v_fma_f16 v3, v6, s4, v3
	v_pack_b32_f16 v6, v14, v15
	v_pack_b32_f16 v0, v0, v2
	;; [unrolled: 1-line block ×4, first 2 shown]
	ds_write2_b32 v28, v6, v2 offset1:30
	v_pack_b32_f16 v2, v18, v12
	v_pack_b32_f16 v1, v1, v3
	ds_write2_b32 v28, v8, v2 offset0:70 offset1:100
	ds_write2_b32 v28, v0, v1 offset0:140 offset1:170
	s_and_saveexec_b64 s[2:3], s[0:1]
	s_cbranch_execz .LBB0_21
; %bb.20:
	v_mul_f16_sdwa v0, v9, v23 dst_sel:DWORD dst_unused:UNUSED_PAD src0_sel:WORD_1 src1_sel:DWORD
	v_mul_f16_sdwa v1, v10, v42 dst_sel:DWORD dst_unused:UNUSED_PAD src0_sel:WORD_1 src1_sel:DWORD
	v_fma_f16 v0, v9, v43, -v0
	v_fma_f16 v1, v10, v44, -v1
	v_mul_f16_sdwa v3, v9, v43 dst_sel:DWORD dst_unused:UNUSED_PAD src0_sel:WORD_1 src1_sel:DWORD
	v_mul_f16_sdwa v5, v10, v44 dst_sel:DWORD dst_unused:UNUSED_PAD src0_sel:WORD_1 src1_sel:DWORD
	v_add_f16_e32 v2, v0, v1
	v_fma_f16 v3, v9, v23, v3
	v_fma_f16 v5, v10, v42, v5
	v_fma_f16 v2, v2, -0.5, v7
	v_sub_f16_e32 v6, v3, v5
	v_fma_f16 v8, v6, s4, v2
	v_fma_f16 v2, v6, s5, v2
	v_add_f16_e32 v6, v7, v0
	v_add_f16_e32 v7, v3, v5
	v_fma_f16 v7, v7, -0.5, v22
	v_sub_f16_e32 v0, v0, v1
	v_add_f16_e32 v3, v22, v3
	v_add_f16_e32 v6, v6, v1
	v_fma_f16 v1, v0, s5, v7
	v_fma_f16 v0, v0, s4, v7
	v_add_f16_e32 v3, v3, v5
	v_pack_b32_f16 v3, v3, v6
	v_pack_b32_f16 v0, v0, v2
	ds_write2_b32 v28, v3, v0 offset0:60 offset1:130
	v_pack_b32_f16 v0, v1, v8
	ds_write_b32 v28, v0 offset:800
.LBB0_21:
	s_or_b64 exec, exec, s[2:3]
	s_waitcnt lgkmcnt(0)
	; wave barrier
	s_waitcnt lgkmcnt(0)
	s_and_b64 exec, exec, vcc
	s_cbranch_execz .LBB0_23
; %bb.22:
	global_load_dword v8, v24, s[6:7]
	global_load_dword v7, v24, s[6:7] offset:84
	v_lshl_add_u32 v6, v26, 2, v24
	global_load_dword v9, v24, s[6:7] offset:168
	global_load_dword v10, v24, s[6:7] offset:252
	;; [unrolled: 1-line block ×6, first 2 shown]
	ds_read_b32 v18, v28
	ds_read2_b32 v[16:17], v6 offset0:21 offset1:42
	ds_read_b32 v12, v6 offset:756
	v_mad_u64_u32 v[0:1], s[0:1], s10, v4, 0
	s_waitcnt lgkmcnt(2)
	v_lshrrev_b32_e32 v19, 16, v18
	v_mad_u64_u32 v[2:3], s[0:1], s8, v25, 0
	s_mov_b32 s14, 0x13813814
	s_mov_b32 s15, 0x3f738138
	s_movk_i32 s18, 0x1ff
	s_movk_i32 s17, 0xffe
	v_mov_b32_e32 v5, 0x7c00
	s_movk_i32 s16, 0x40f
	s_mov_b32 s10, 0x8000
	s_waitcnt vmcnt(7)
	v_mul_f16_sdwa v20, v19, v8 dst_sel:DWORD dst_unused:UNUSED_PAD src0_sel:DWORD src1_sel:WORD_1
	v_fma_f16 v20, v18, v8, v20
	v_mul_f16_sdwa v18, v18, v8 dst_sel:DWORD dst_unused:UNUSED_PAD src0_sel:DWORD src1_sel:WORD_1
	v_cvt_f32_f16_e32 v20, v20
	v_fma_f16 v8, v8, v19, -v18
	v_cvt_f32_f16_e32 v8, v8
	v_cvt_f64_f32_e32 v[18:19], v20
	v_mad_u64_u32 v[20:21], s[0:1], s11, v4, v[1:2]
	v_cvt_f64_f32_e32 v[21:22], v8
	v_mul_f64 v[18:19], v[18:19], s[14:15]
	v_mov_b32_e32 v1, v20
	v_mad_u64_u32 v[3:4], s[0:1], s9, v25, v[3:4]
	v_mul_f64 v[20:21], v[21:22], s[14:15]
	s_waitcnt lgkmcnt(1)
	v_lshrrev_b32_e32 v4, 16, v16
	s_waitcnt vmcnt(6)
	v_mul_f16_sdwa v8, v4, v7 dst_sel:DWORD dst_unused:UNUSED_PAD src0_sel:DWORD src1_sel:WORD_1
	v_fma_f16 v8, v16, v7, v8
	v_and_or_b32 v18, v19, s18, v18
	v_cmp_ne_u32_e32 vcc, 0, v18
	v_lshrrev_b32_e32 v22, 8, v19
	v_bfe_u32 v23, v19, 20, 11
	v_and_or_b32 v20, v21, s18, v20
	v_cndmask_b32_e64 v18, 0, 1, vcc
	v_cmp_ne_u32_e32 vcc, 0, v20
	v_lshrrev_b32_e32 v25, 8, v21
	v_bfe_u32 v26, v21, 20, 11
	v_sub_u32_e32 v27, 0x3f1, v23
	v_cndmask_b32_e64 v20, 0, 1, vcc
	v_and_or_b32 v18, v22, s17, v18
	v_sub_u32_e32 v28, 0x3f1, v26
	v_med3_i32 v22, v27, 0, 13
	v_and_or_b32 v20, v25, s17, v20
	v_or_b32_e32 v27, 0x1000, v18
	v_add_u32_e32 v23, 0xfffffc10, v23
	v_med3_i32 v25, v28, 0, 13
	v_cmp_ne_u32_e32 vcc, 0, v18
	v_or_b32_e32 v29, 0x1000, v20
	v_lshrrev_b32_e32 v31, v22, v27
	v_add_u32_e32 v26, 0xfffffc10, v26
	v_lshl_or_b32 v28, v23, 12, v18
	v_cndmask_b32_e64 v18, 0, 1, vcc
	v_cmp_ne_u32_e32 vcc, 0, v20
	v_lshrrev_b32_e32 v32, v25, v29
	v_lshlrev_b32_e32 v22, v22, v31
	v_lshl_or_b32 v30, v26, 12, v20
	v_cndmask_b32_e64 v20, 0, 1, vcc
	v_lshlrev_b32_e32 v25, v25, v32
	v_cmp_ne_u32_e32 vcc, v22, v27
	v_cndmask_b32_e64 v22, 0, 1, vcc
	v_cmp_ne_u32_e32 vcc, v25, v29
	v_cndmask_b32_e64 v25, 0, 1, vcc
	v_or_b32_e32 v22, v31, v22
	v_cmp_gt_i32_e32 vcc, 1, v23
	v_cndmask_b32_e32 v22, v28, v22, vcc
	v_or_b32_e32 v25, v32, v25
	v_cmp_gt_i32_e32 vcc, 1, v26
	v_and_b32_e32 v27, 7, v22
	v_cndmask_b32_e32 v25, v30, v25, vcc
	v_cmp_lt_i32_e32 vcc, 5, v27
	v_cmp_eq_u32_e64 s[0:1], 3, v27
	v_lshrrev_b32_e32 v22, 2, v22
	v_and_b32_e32 v28, 7, v25
	s_or_b64 vcc, s[0:1], vcc
	v_cmp_lt_i32_e64 s[2:3], 5, v28
	v_cmp_eq_u32_e64 s[4:5], 3, v28
	v_addc_co_u32_e32 v22, vcc, 0, v22, vcc
	v_lshrrev_b32_e32 v25, 2, v25
	s_or_b64 vcc, s[4:5], s[2:3]
	v_addc_co_u32_e32 v25, vcc, 0, v25, vcc
	v_cmp_gt_i32_e32 vcc, 31, v23
	v_cvt_f32_f16_e32 v8, v8
	v_cndmask_b32_e32 v22, v5, v22, vcc
	v_cmp_gt_i32_e32 vcc, 31, v26
	v_lshl_or_b32 v18, v18, 9, v5
	v_cndmask_b32_e32 v25, v5, v25, vcc
	v_cmp_eq_u32_e32 vcc, s16, v23
	v_lshrrev_b32_e32 v19, 16, v19
	v_lshl_or_b32 v20, v20, 9, v5
	v_cndmask_b32_e32 v18, v22, v18, vcc
	v_cmp_eq_u32_e32 vcc, s16, v26
	v_lshrrev_b32_e32 v21, 16, v21
	v_cndmask_b32_e32 v20, v25, v20, vcc
	v_and_or_b32 v18, v19, s10, v18
	v_and_or_b32 v20, v21, s10, v20
	v_and_b32_e32 v21, 0xffff, v18
	v_cvt_f64_f32_e32 v[18:19], v8
	v_lshlrev_b64 v[0:1], 2, v[0:1]
	v_lshl_or_b32 v8, v20, 16, v21
	v_mov_b32_e32 v20, s13
	v_mul_f64 v[18:19], v[18:19], s[14:15]
	v_add_co_u32_e32 v21, vcc, s12, v0
	v_addc_co_u32_e32 v20, vcc, v20, v1, vcc
	v_lshlrev_b64 v[0:1], 2, v[2:3]
	v_mul_f16_sdwa v16, v16, v7 dst_sel:DWORD dst_unused:UNUSED_PAD src0_sel:DWORD src1_sel:WORD_1
	v_add_co_u32_e32 v0, vcc, v21, v0
	v_addc_co_u32_e32 v1, vcc, v20, v1, vcc
	v_and_or_b32 v2, v19, s18, v18
	v_cmp_ne_u32_e32 vcc, 0, v2
	v_cndmask_b32_e64 v2, 0, 1, vcc
	v_lshrrev_b32_e32 v3, 8, v19
	global_store_dword v[0:1], v8, off
	v_and_or_b32 v8, v3, s17, v2
	v_bfe_u32 v3, v19, 20, 11
	v_sub_u32_e32 v18, 0x3f1, v3
	v_or_b32_e32 v2, 0x1000, v8
	v_med3_i32 v18, v18, 0, 13
	v_lshrrev_b32_e32 v20, v18, v2
	v_lshlrev_b32_e32 v18, v18, v20
	v_cmp_ne_u32_e32 vcc, v18, v2
	v_fma_f16 v4, v7, v4, -v16
	v_cndmask_b32_e64 v2, 0, 1, vcc
	v_add_u32_e32 v18, 0xfffffc10, v3
	v_cvt_f32_f16_e32 v4, v4
	v_or_b32_e32 v2, v20, v2
	v_lshl_or_b32 v3, v18, 12, v8
	v_cmp_gt_i32_e32 vcc, 1, v18
	v_cndmask_b32_e32 v2, v3, v2, vcc
	v_and_b32_e32 v3, 7, v2
	v_cmp_lt_i32_e32 vcc, 5, v3
	v_cmp_eq_u32_e64 s[0:1], 3, v3
	v_lshrrev_b32_e32 v7, 2, v2
	v_cvt_f64_f32_e32 v[2:3], v4
	s_or_b64 vcc, s[0:1], vcc
	v_addc_co_u32_e32 v4, vcc, 0, v7, vcc
	v_mul_f64 v[2:3], v[2:3], s[14:15]
	v_cmp_gt_i32_e32 vcc, 31, v18
	v_cndmask_b32_e32 v4, v5, v4, vcc
	v_cmp_ne_u32_e32 vcc, 0, v8
	v_cndmask_b32_e64 v7, 0, 1, vcc
	v_lshl_or_b32 v7, v7, 9, v5
	v_cmp_eq_u32_e32 vcc, s16, v18
	v_cndmask_b32_e32 v4, v4, v7, vcc
	v_and_or_b32 v2, v3, s18, v2
	v_lshrrev_b32_e32 v7, 16, v19
	v_cmp_ne_u32_e32 vcc, 0, v2
	v_and_or_b32 v4, v7, s10, v4
	v_cndmask_b32_e64 v2, 0, 1, vcc
	v_lshrrev_b32_e32 v7, 8, v3
	v_bfe_u32 v8, v3, 20, 11
	v_and_or_b32 v2, v7, s17, v2
	v_sub_u32_e32 v16, 0x3f1, v8
	v_or_b32_e32 v7, 0x1000, v2
	v_med3_i32 v16, v16, 0, 13
	v_lshrrev_b32_e32 v18, v16, v7
	v_lshlrev_b32_e32 v16, v16, v18
	v_cmp_ne_u32_e32 vcc, v16, v7
	v_cndmask_b32_e64 v7, 0, 1, vcc
	v_add_u32_e32 v8, 0xfffffc10, v8
	v_or_b32_e32 v7, v18, v7
	v_lshl_or_b32 v16, v8, 12, v2
	v_cmp_gt_i32_e32 vcc, 1, v8
	v_cndmask_b32_e32 v7, v16, v7, vcc
	v_and_b32_e32 v16, 7, v7
	v_cmp_lt_i32_e32 vcc, 5, v16
	v_cmp_eq_u32_e64 s[0:1], 3, v16
	v_lshrrev_b32_e32 v7, 2, v7
	s_or_b64 vcc, s[0:1], vcc
	v_addc_co_u32_e32 v7, vcc, 0, v7, vcc
	v_cmp_gt_i32_e32 vcc, 31, v8
	v_cndmask_b32_e32 v7, v5, v7, vcc
	v_cmp_ne_u32_e32 vcc, 0, v2
	v_cndmask_b32_e64 v2, 0, 1, vcc
	v_lshl_or_b32 v2, v2, 9, v5
	v_cmp_eq_u32_e32 vcc, s16, v8
	v_cndmask_b32_e32 v2, v7, v2, vcc
	v_lshrrev_b32_e32 v7, 16, v17
	s_waitcnt vmcnt(6)
	v_mul_f16_sdwa v8, v7, v9 dst_sel:DWORD dst_unused:UNUSED_PAD src0_sel:DWORD src1_sel:WORD_1
	v_fma_f16 v8, v17, v9, v8
	v_cvt_f32_f16_e32 v8, v8
	v_lshrrev_b32_e32 v3, 16, v3
	v_and_or_b32 v2, v3, s10, v2
	v_and_b32_e32 v3, 0xffff, v4
	v_lshl_or_b32 v4, v2, 16, v3
	v_cvt_f64_f32_e32 v[2:3], v8
	s_mul_i32 s0, s9, 0x54
	s_mul_hi_u32 s2, s8, 0x54
	s_add_i32 s2, s2, s0
	v_mul_f64 v[2:3], v[2:3], s[14:15]
	s_mul_i32 s3, s8, 0x54
	v_mov_b32_e32 v8, s2
	v_add_co_u32_e32 v0, vcc, s3, v0
	v_addc_co_u32_e32 v1, vcc, v1, v8, vcc
	global_store_dword v[0:1], v4, off
	v_and_or_b32 v2, v3, s18, v2
	v_cmp_ne_u32_e32 vcc, 0, v2
	v_cndmask_b32_e64 v2, 0, 1, vcc
	v_lshrrev_b32_e32 v4, 8, v3
	v_bfe_u32 v8, v3, 20, 11
	v_and_or_b32 v2, v4, s17, v2
	v_sub_u32_e32 v16, 0x3f1, v8
	v_or_b32_e32 v4, 0x1000, v2
	v_med3_i32 v16, v16, 0, 13
	v_lshrrev_b32_e32 v18, v16, v4
	v_lshlrev_b32_e32 v16, v16, v18
	v_mul_f16_sdwa v17, v17, v9 dst_sel:DWORD dst_unused:UNUSED_PAD src0_sel:DWORD src1_sel:WORD_1
	v_cmp_ne_u32_e32 vcc, v16, v4
	v_fma_f16 v7, v9, v7, -v17
	v_cndmask_b32_e64 v4, 0, 1, vcc
	v_add_u32_e32 v16, 0xfffffc10, v8
	v_cvt_f32_f16_e32 v7, v7
	v_or_b32_e32 v4, v18, v4
	v_lshl_or_b32 v8, v16, 12, v2
	v_cmp_gt_i32_e32 vcc, 1, v16
	v_cndmask_b32_e32 v4, v8, v4, vcc
	v_and_b32_e32 v8, 7, v4
	v_cmp_lt_i32_e32 vcc, 5, v8
	v_cmp_eq_u32_e64 s[0:1], 3, v8
	v_cvt_f64_f32_e32 v[7:8], v7
	v_lshrrev_b32_e32 v4, 2, v4
	s_or_b64 vcc, s[0:1], vcc
	v_addc_co_u32_e32 v4, vcc, 0, v4, vcc
	v_mul_f64 v[7:8], v[7:8], s[14:15]
	v_cmp_gt_i32_e32 vcc, 31, v16
	v_cndmask_b32_e32 v4, v5, v4, vcc
	v_cmp_ne_u32_e32 vcc, 0, v2
	v_cndmask_b32_e64 v2, 0, 1, vcc
	v_lshl_or_b32 v2, v2, 9, v5
	v_cmp_eq_u32_e32 vcc, s16, v16
	v_cndmask_b32_e32 v2, v4, v2, vcc
	v_lshrrev_b32_e32 v3, 16, v3
	v_and_or_b32 v4, v3, s10, v2
	v_and_or_b32 v2, v8, s18, v7
	v_cmp_ne_u32_e32 vcc, 0, v2
	v_cndmask_b32_e64 v2, 0, 1, vcc
	v_lshrrev_b32_e32 v3, 8, v8
	v_and_or_b32 v7, v3, s17, v2
	v_bfe_u32 v3, v8, 20, 11
	v_sub_u32_e32 v9, 0x3f1, v3
	v_or_b32_e32 v2, 0x1000, v7
	v_med3_i32 v9, v9, 0, 13
	v_lshrrev_b32_e32 v16, v9, v2
	v_lshlrev_b32_e32 v9, v9, v16
	v_cmp_ne_u32_e32 vcc, v9, v2
	v_cndmask_b32_e64 v2, 0, 1, vcc
	v_add_u32_e32 v9, 0xfffffc10, v3
	v_or_b32_e32 v2, v16, v2
	v_lshl_or_b32 v3, v9, 12, v7
	v_cmp_gt_i32_e32 vcc, 1, v9
	v_cndmask_b32_e32 v2, v3, v2, vcc
	v_and_b32_e32 v3, 7, v2
	v_cmp_lt_i32_e32 vcc, 5, v3
	v_cmp_eq_u32_e64 s[0:1], 3, v3
	v_lshrrev_b32_e32 v2, 2, v2
	s_or_b64 vcc, s[0:1], vcc
	v_addc_co_u32_e32 v16, vcc, 0, v2, vcc
	ds_read2_b32 v[2:3], v6 offset0:63 offset1:84
	v_cmp_gt_i32_e32 vcc, 31, v9
	v_cndmask_b32_e32 v16, v5, v16, vcc
	v_cmp_ne_u32_e32 vcc, 0, v7
	v_cndmask_b32_e64 v7, 0, 1, vcc
	s_waitcnt lgkmcnt(0)
	v_lshrrev_b32_e32 v18, 16, v2
	s_waitcnt vmcnt(6)
	v_mul_f16_sdwa v17, v18, v10 dst_sel:DWORD dst_unused:UNUSED_PAD src0_sel:DWORD src1_sel:WORD_1
	v_fma_f16 v17, v2, v10, v17
	v_cvt_f32_f16_e32 v17, v17
	v_lshl_or_b32 v7, v7, 9, v5
	v_cmp_eq_u32_e32 vcc, s16, v9
	v_cndmask_b32_e32 v7, v16, v7, vcc
	v_cvt_f64_f32_e32 v[16:17], v17
	v_lshrrev_b32_e32 v8, 16, v8
	v_and_or_b32 v9, v8, s10, v7
	v_and_b32_e32 v4, 0xffff, v4
	v_mul_f64 v[7:8], v[16:17], s[14:15]
	v_lshl_or_b32 v4, v9, 16, v4
	v_mov_b32_e32 v9, s2
	v_add_co_u32_e32 v0, vcc, s3, v0
	v_addc_co_u32_e32 v1, vcc, v1, v9, vcc
	global_store_dword v[0:1], v4, off
	v_and_or_b32 v4, v8, s18, v7
	v_cmp_ne_u32_e32 vcc, 0, v4
	v_cndmask_b32_e64 v4, 0, 1, vcc
	v_lshrrev_b32_e32 v7, 8, v8
	v_bfe_u32 v9, v8, 20, 11
	v_and_or_b32 v4, v7, s17, v4
	v_sub_u32_e32 v16, 0x3f1, v9
	v_or_b32_e32 v7, 0x1000, v4
	v_med3_i32 v16, v16, 0, 13
	v_lshrrev_b32_e32 v17, v16, v7
	v_lshlrev_b32_e32 v16, v16, v17
	v_mul_f16_sdwa v2, v2, v10 dst_sel:DWORD dst_unused:UNUSED_PAD src0_sel:DWORD src1_sel:WORD_1
	v_cmp_ne_u32_e32 vcc, v16, v7
	v_fma_f16 v2, v10, v18, -v2
	v_cndmask_b32_e64 v7, 0, 1, vcc
	v_add_u32_e32 v16, 0xfffffc10, v9
	v_cvt_f32_f16_e32 v2, v2
	v_or_b32_e32 v7, v17, v7
	v_lshl_or_b32 v9, v16, 12, v4
	v_cmp_gt_i32_e32 vcc, 1, v16
	v_cndmask_b32_e32 v7, v9, v7, vcc
	v_and_b32_e32 v9, 7, v7
	v_cmp_lt_i32_e32 vcc, 5, v9
	v_cmp_eq_u32_e64 s[0:1], 3, v9
	v_cvt_f64_f32_e32 v[9:10], v2
	v_lshrrev_b32_e32 v7, 2, v7
	s_or_b64 vcc, s[0:1], vcc
	v_addc_co_u32_e32 v2, vcc, 0, v7, vcc
	v_mul_f64 v[9:10], v[9:10], s[14:15]
	v_cmp_gt_i32_e32 vcc, 31, v16
	v_cndmask_b32_e32 v2, v5, v2, vcc
	v_cmp_ne_u32_e32 vcc, 0, v4
	v_cndmask_b32_e64 v4, 0, 1, vcc
	v_lshl_or_b32 v4, v4, 9, v5
	v_cmp_eq_u32_e32 vcc, s16, v16
	v_cndmask_b32_e32 v2, v2, v4, vcc
	v_lshrrev_b32_e32 v4, 16, v8
	v_and_or_b32 v2, v4, s10, v2
	v_and_or_b32 v4, v10, s18, v9
	v_cmp_ne_u32_e32 vcc, 0, v4
	v_cndmask_b32_e64 v4, 0, 1, vcc
	v_lshrrev_b32_e32 v7, 8, v10
	v_bfe_u32 v8, v10, 20, 11
	v_and_or_b32 v4, v7, s17, v4
	v_sub_u32_e32 v9, 0x3f1, v8
	v_or_b32_e32 v7, 0x1000, v4
	v_med3_i32 v9, v9, 0, 13
	v_lshrrev_b32_e32 v16, v9, v7
	v_lshlrev_b32_e32 v9, v9, v16
	v_cmp_ne_u32_e32 vcc, v9, v7
	v_cndmask_b32_e64 v7, 0, 1, vcc
	v_add_u32_e32 v8, 0xfffffc10, v8
	v_or_b32_e32 v7, v16, v7
	v_lshl_or_b32 v9, v8, 12, v4
	v_cmp_gt_i32_e32 vcc, 1, v8
	v_cndmask_b32_e32 v7, v9, v7, vcc
	v_and_b32_e32 v9, 7, v7
	v_cmp_lt_i32_e32 vcc, 5, v9
	v_cmp_eq_u32_e64 s[0:1], 3, v9
	v_lshrrev_b32_e32 v9, 16, v3
	v_lshrrev_b32_e32 v7, 2, v7
	s_or_b64 vcc, s[0:1], vcc
	s_waitcnt vmcnt(6)
	v_mul_f16_sdwa v16, v9, v11 dst_sel:DWORD dst_unused:UNUSED_PAD src0_sel:DWORD src1_sel:WORD_1
	v_addc_co_u32_e32 v7, vcc, 0, v7, vcc
	v_fma_f16 v16, v3, v11, v16
	v_cmp_gt_i32_e32 vcc, 31, v8
	v_cvt_f32_f16_e32 v16, v16
	v_cndmask_b32_e32 v7, v5, v7, vcc
	v_cmp_ne_u32_e32 vcc, 0, v4
	v_cndmask_b32_e64 v4, 0, 1, vcc
	v_lshl_or_b32 v4, v4, 9, v5
	v_cmp_eq_u32_e32 vcc, s16, v8
	v_cndmask_b32_e32 v4, v7, v4, vcc
	v_cvt_f64_f32_e32 v[7:8], v16
	v_lshrrev_b32_e32 v10, 16, v10
	v_and_or_b32 v4, v10, s10, v4
	v_and_b32_e32 v2, 0xffff, v2
	v_mul_f64 v[7:8], v[7:8], s[14:15]
	v_lshl_or_b32 v2, v4, 16, v2
	v_mov_b32_e32 v4, s2
	v_add_co_u32_e32 v0, vcc, s3, v0
	v_addc_co_u32_e32 v1, vcc, v1, v4, vcc
	global_store_dword v[0:1], v2, off
	v_and_or_b32 v2, v8, s18, v7
	v_cmp_ne_u32_e32 vcc, 0, v2
	v_cndmask_b32_e64 v2, 0, 1, vcc
	v_lshrrev_b32_e32 v4, 8, v8
	v_bfe_u32 v7, v8, 20, 11
	v_and_or_b32 v4, v4, s17, v2
	v_sub_u32_e32 v10, 0x3f1, v7
	v_or_b32_e32 v2, 0x1000, v4
	v_med3_i32 v10, v10, 0, 13
	v_lshrrev_b32_e32 v16, v10, v2
	v_mul_f16_sdwa v3, v3, v11 dst_sel:DWORD dst_unused:UNUSED_PAD src0_sel:DWORD src1_sel:WORD_1
	v_lshlrev_b32_e32 v10, v10, v16
	v_fma_f16 v3, v11, v9, -v3
	v_cmp_ne_u32_e32 vcc, v10, v2
	v_cvt_f32_f16_e32 v3, v3
	v_cndmask_b32_e64 v2, 0, 1, vcc
	v_add_u32_e32 v7, 0xfffffc10, v7
	v_or_b32_e32 v2, v16, v2
	v_lshl_or_b32 v10, v7, 12, v4
	v_cmp_gt_i32_e32 vcc, 1, v7
	v_cndmask_b32_e32 v2, v10, v2, vcc
	v_and_b32_e32 v10, 7, v2
	v_lshrrev_b32_e32 v9, 2, v2
	v_cvt_f64_f32_e32 v[2:3], v3
	v_cmp_lt_i32_e32 vcc, 5, v10
	v_cmp_eq_u32_e64 s[0:1], 3, v10
	s_or_b64 vcc, s[0:1], vcc
	v_mul_f64 v[2:3], v[2:3], s[14:15]
	v_addc_co_u32_e32 v9, vcc, 0, v9, vcc
	v_cmp_gt_i32_e32 vcc, 31, v7
	v_cndmask_b32_e32 v9, v5, v9, vcc
	v_cmp_ne_u32_e32 vcc, 0, v4
	v_cndmask_b32_e64 v4, 0, 1, vcc
	v_lshl_or_b32 v4, v4, 9, v5
	v_cmp_eq_u32_e32 vcc, s16, v7
	v_and_or_b32 v2, v3, s18, v2
	v_cndmask_b32_e32 v4, v9, v4, vcc
	v_lshrrev_b32_e32 v7, 16, v8
	v_cmp_ne_u32_e32 vcc, 0, v2
	v_and_or_b32 v4, v7, s10, v4
	v_cndmask_b32_e64 v2, 0, 1, vcc
	v_lshrrev_b32_e32 v7, 8, v3
	v_bfe_u32 v8, v3, 20, 11
	v_and_or_b32 v2, v7, s17, v2
	v_sub_u32_e32 v9, 0x3f1, v8
	v_or_b32_e32 v7, 0x1000, v2
	v_med3_i32 v9, v9, 0, 13
	v_lshrrev_b32_e32 v10, v9, v7
	v_lshlrev_b32_e32 v9, v9, v10
	v_cmp_ne_u32_e32 vcc, v9, v7
	v_cndmask_b32_e64 v7, 0, 1, vcc
	v_add_u32_e32 v9, 0xfffffc10, v8
	v_or_b32_e32 v7, v10, v7
	v_lshl_or_b32 v8, v9, 12, v2
	v_cmp_gt_i32_e32 vcc, 1, v9
	v_cndmask_b32_e32 v7, v8, v7, vcc
	v_and_b32_e32 v8, 7, v7
	v_cmp_lt_i32_e32 vcc, 5, v8
	v_cmp_eq_u32_e64 s[0:1], 3, v8
	v_lshrrev_b32_e32 v7, 2, v7
	s_or_b64 vcc, s[0:1], vcc
	v_addc_co_u32_e32 v10, vcc, 0, v7, vcc
	ds_read2_b32 v[7:8], v6 offset0:105 offset1:126
	v_cmp_gt_i32_e32 vcc, 31, v9
	v_cndmask_b32_e32 v10, v5, v10, vcc
	v_cmp_ne_u32_e32 vcc, 0, v2
	v_cndmask_b32_e64 v2, 0, 1, vcc
	s_waitcnt lgkmcnt(0)
	v_lshrrev_b32_e32 v11, 16, v7
	s_waitcnt vmcnt(6)
	v_mul_f16_sdwa v16, v11, v13 dst_sel:DWORD dst_unused:UNUSED_PAD src0_sel:DWORD src1_sel:WORD_1
	v_fma_f16 v16, v7, v13, v16
	v_cvt_f32_f16_e32 v16, v16
	v_lshl_or_b32 v2, v2, 9, v5
	v_cmp_eq_u32_e32 vcc, s16, v9
	v_cndmask_b32_e32 v2, v10, v2, vcc
	v_cvt_f64_f32_e32 v[9:10], v16
	v_lshrrev_b32_e32 v3, 16, v3
	v_and_or_b32 v16, v3, s10, v2
	v_add_co_u32_e32 v0, vcc, s3, v0
	v_mul_f64 v[2:3], v[9:10], s[14:15]
	v_mov_b32_e32 v9, s2
	v_and_b32_e32 v4, 0xffff, v4
	v_addc_co_u32_e32 v1, vcc, v1, v9, vcc
	v_lshl_or_b32 v4, v16, 16, v4
	global_store_dword v[0:1], v4, off
	v_mul_f16_sdwa v7, v7, v13 dst_sel:DWORD dst_unused:UNUSED_PAD src0_sel:DWORD src1_sel:WORD_1
	v_and_or_b32 v2, v3, s18, v2
	v_cmp_ne_u32_e32 vcc, 0, v2
	v_cndmask_b32_e64 v2, 0, 1, vcc
	v_lshrrev_b32_e32 v4, 8, v3
	v_bfe_u32 v9, v3, 20, 11
	v_and_or_b32 v2, v4, s17, v2
	v_sub_u32_e32 v10, 0x3f1, v9
	v_or_b32_e32 v4, 0x1000, v2
	v_med3_i32 v10, v10, 0, 13
	v_lshrrev_b32_e32 v16, v10, v4
	v_lshlrev_b32_e32 v10, v10, v16
	v_cmp_ne_u32_e32 vcc, v10, v4
	v_cndmask_b32_e64 v4, 0, 1, vcc
	v_fma_f16 v7, v13, v11, -v7
	v_or_b32_e32 v4, v16, v4
	v_add_u32_e32 v16, 0xfffffc10, v9
	v_cvt_f32_f16_e32 v7, v7
	v_lshl_or_b32 v9, v16, 12, v2
	v_cmp_gt_i32_e32 vcc, 1, v16
	v_cndmask_b32_e32 v4, v9, v4, vcc
	v_and_b32_e32 v9, 7, v4
	v_cmp_lt_i32_e32 vcc, 5, v9
	v_cmp_eq_u32_e64 s[0:1], 3, v9
	v_cvt_f64_f32_e32 v[9:10], v7
	v_lshrrev_b32_e32 v4, 2, v4
	s_or_b64 vcc, s[0:1], vcc
	v_addc_co_u32_e32 v4, vcc, 0, v4, vcc
	v_mul_f64 v[9:10], v[9:10], s[14:15]
	v_cmp_gt_i32_e32 vcc, 31, v16
	v_cndmask_b32_e32 v4, v5, v4, vcc
	v_cmp_ne_u32_e32 vcc, 0, v2
	v_cndmask_b32_e64 v2, 0, 1, vcc
	v_lshl_or_b32 v2, v2, 9, v5
	v_cmp_eq_u32_e32 vcc, s16, v16
	v_cndmask_b32_e32 v2, v4, v2, vcc
	v_lshrrev_b32_e32 v3, 16, v3
	v_and_or_b32 v4, v3, s10, v2
	v_and_or_b32 v2, v10, s18, v9
	v_cmp_ne_u32_e32 vcc, 0, v2
	v_cndmask_b32_e64 v2, 0, 1, vcc
	v_lshrrev_b32_e32 v3, 8, v10
	v_bfe_u32 v7, v10, 20, 11
	v_and_or_b32 v2, v3, s17, v2
	v_sub_u32_e32 v9, 0x3f1, v7
	v_or_b32_e32 v3, 0x1000, v2
	v_med3_i32 v9, v9, 0, 13
	v_lshrrev_b32_e32 v11, v9, v3
	v_lshlrev_b32_e32 v9, v9, v11
	v_cmp_ne_u32_e32 vcc, v9, v3
	v_cndmask_b32_e64 v3, 0, 1, vcc
	v_add_u32_e32 v7, 0xfffffc10, v7
	v_or_b32_e32 v3, v11, v3
	v_lshl_or_b32 v9, v7, 12, v2
	v_cmp_gt_i32_e32 vcc, 1, v7
	v_cndmask_b32_e32 v3, v9, v3, vcc
	v_and_b32_e32 v9, 7, v3
	v_cmp_lt_i32_e32 vcc, 5, v9
	v_cmp_eq_u32_e64 s[0:1], 3, v9
	v_lshrrev_b32_e32 v9, 16, v8
	v_lshrrev_b32_e32 v3, 2, v3
	s_or_b64 vcc, s[0:1], vcc
	s_waitcnt vmcnt(6)
	v_mul_f16_sdwa v11, v9, v14 dst_sel:DWORD dst_unused:UNUSED_PAD src0_sel:DWORD src1_sel:WORD_1
	v_addc_co_u32_e32 v3, vcc, 0, v3, vcc
	v_fma_f16 v11, v8, v14, v11
	v_cmp_gt_i32_e32 vcc, 31, v7
	v_cvt_f32_f16_e32 v11, v11
	v_cndmask_b32_e32 v3, v5, v3, vcc
	v_cmp_ne_u32_e32 vcc, 0, v2
	v_cndmask_b32_e64 v2, 0, 1, vcc
	v_lshl_or_b32 v2, v2, 9, v5
	v_cmp_eq_u32_e32 vcc, s16, v7
	v_cndmask_b32_e32 v7, v3, v2, vcc
	v_cvt_f64_f32_e32 v[2:3], v11
	v_lshrrev_b32_e32 v10, 16, v10
	v_and_or_b32 v7, v10, s10, v7
	v_and_b32_e32 v4, 0xffff, v4
	v_mul_f64 v[2:3], v[2:3], s[14:15]
	v_lshl_or_b32 v4, v7, 16, v4
	v_mov_b32_e32 v7, s2
	v_add_co_u32_e32 v0, vcc, s3, v0
	v_addc_co_u32_e32 v1, vcc, v1, v7, vcc
	global_store_dword v[0:1], v4, off
	v_and_or_b32 v2, v3, s18, v2
	v_cmp_ne_u32_e32 vcc, 0, v2
	v_cndmask_b32_e64 v2, 0, 1, vcc
	v_lshrrev_b32_e32 v4, 8, v3
	v_bfe_u32 v7, v3, 20, 11
	v_and_or_b32 v2, v4, s17, v2
	v_sub_u32_e32 v10, 0x3f1, v7
	v_or_b32_e32 v4, 0x1000, v2
	v_med3_i32 v10, v10, 0, 13
	v_lshrrev_b32_e32 v11, v10, v4
	v_lshlrev_b32_e32 v10, v10, v11
	v_mul_f16_sdwa v8, v8, v14 dst_sel:DWORD dst_unused:UNUSED_PAD src0_sel:DWORD src1_sel:WORD_1
	v_cmp_ne_u32_e32 vcc, v10, v4
	v_fma_f16 v8, v14, v9, -v8
	v_cndmask_b32_e64 v4, 0, 1, vcc
	v_add_u32_e32 v10, 0xfffffc10, v7
	v_cvt_f32_f16_e32 v8, v8
	v_or_b32_e32 v4, v11, v4
	v_lshl_or_b32 v7, v10, 12, v2
	v_cmp_gt_i32_e32 vcc, 1, v10
	v_cndmask_b32_e32 v4, v7, v4, vcc
	v_and_b32_e32 v7, 7, v4
	v_cmp_lt_i32_e32 vcc, 5, v7
	v_cmp_eq_u32_e64 s[0:1], 3, v7
	v_cvt_f64_f32_e32 v[7:8], v8
	v_lshrrev_b32_e32 v4, 2, v4
	s_or_b64 vcc, s[0:1], vcc
	v_addc_co_u32_e32 v4, vcc, 0, v4, vcc
	v_mul_f64 v[7:8], v[7:8], s[14:15]
	v_cmp_gt_i32_e32 vcc, 31, v10
	v_cndmask_b32_e32 v4, v5, v4, vcc
	v_cmp_ne_u32_e32 vcc, 0, v2
	v_cndmask_b32_e64 v2, 0, 1, vcc
	v_lshl_or_b32 v2, v2, 9, v5
	v_cmp_eq_u32_e32 vcc, s16, v10
	v_cndmask_b32_e32 v2, v4, v2, vcc
	v_lshrrev_b32_e32 v3, 16, v3
	v_and_or_b32 v4, v3, s10, v2
	v_and_or_b32 v2, v8, s18, v7
	v_cmp_ne_u32_e32 vcc, 0, v2
	v_cndmask_b32_e64 v2, 0, 1, vcc
	v_lshrrev_b32_e32 v3, 8, v8
	v_and_or_b32 v7, v3, s17, v2
	v_bfe_u32 v3, v8, 20, 11
	v_sub_u32_e32 v9, 0x3f1, v3
	v_or_b32_e32 v2, 0x1000, v7
	v_med3_i32 v9, v9, 0, 13
	v_lshrrev_b32_e32 v10, v9, v2
	v_lshlrev_b32_e32 v9, v9, v10
	v_cmp_ne_u32_e32 vcc, v9, v2
	v_cndmask_b32_e64 v2, 0, 1, vcc
	v_add_u32_e32 v9, 0xfffffc10, v3
	v_or_b32_e32 v2, v10, v2
	v_lshl_or_b32 v3, v9, 12, v7
	v_cmp_gt_i32_e32 vcc, 1, v9
	v_cndmask_b32_e32 v2, v3, v2, vcc
	v_and_b32_e32 v3, 7, v2
	v_cmp_lt_i32_e32 vcc, 5, v3
	v_cmp_eq_u32_e64 s[0:1], 3, v3
	v_lshrrev_b32_e32 v2, 2, v2
	s_or_b64 vcc, s[0:1], vcc
	v_addc_co_u32_e32 v10, vcc, 0, v2, vcc
	ds_read2_b32 v[2:3], v6 offset0:147 offset1:168
	v_cmp_gt_i32_e32 vcc, 31, v9
	v_cndmask_b32_e32 v6, v5, v10, vcc
	v_cmp_ne_u32_e32 vcc, 0, v7
	v_cndmask_b32_e64 v7, 0, 1, vcc
	s_waitcnt lgkmcnt(0)
	v_lshrrev_b32_e32 v10, 16, v2
	s_waitcnt vmcnt(6)
	v_mul_f16_sdwa v11, v10, v15 dst_sel:DWORD dst_unused:UNUSED_PAD src0_sel:DWORD src1_sel:WORD_1
	v_fma_f16 v11, v2, v15, v11
	v_cvt_f32_f16_e32 v11, v11
	v_lshl_or_b32 v7, v7, 9, v5
	v_cmp_eq_u32_e32 vcc, s16, v9
	v_cndmask_b32_e32 v9, v6, v7, vcc
	v_cvt_f64_f32_e32 v[6:7], v11
	global_load_dword v11, v24, s[6:7] offset:672
	v_lshrrev_b32_e32 v8, 16, v8
	v_and_or_b32 v8, v8, s10, v9
	v_mul_f64 v[6:7], v[6:7], s[14:15]
	v_and_b32_e32 v4, 0xffff, v4
	v_lshl_or_b32 v4, v8, 16, v4
	v_mov_b32_e32 v8, s2
	v_add_co_u32_e32 v0, vcc, s3, v0
	v_addc_co_u32_e32 v1, vcc, v1, v8, vcc
	global_store_dword v[0:1], v4, off
	v_and_or_b32 v4, v7, s18, v6
	v_cmp_ne_u32_e32 vcc, 0, v4
	v_cndmask_b32_e64 v4, 0, 1, vcc
	v_lshrrev_b32_e32 v6, 8, v7
	v_bfe_u32 v8, v7, 20, 11
	v_and_or_b32 v4, v6, s17, v4
	v_sub_u32_e32 v9, 0x3f1, v8
	v_or_b32_e32 v6, 0x1000, v4
	v_med3_i32 v9, v9, 0, 13
	v_lshrrev_b32_e32 v13, v9, v6
	v_lshlrev_b32_e32 v9, v9, v13
	v_cmp_ne_u32_e32 vcc, v9, v6
	v_mul_f16_sdwa v2, v2, v15 dst_sel:DWORD dst_unused:UNUSED_PAD src0_sel:DWORD src1_sel:WORD_1
	v_cndmask_b32_e64 v6, 0, 1, vcc
	v_fma_f16 v2, v15, v10, -v2
	v_or_b32_e32 v6, v13, v6
	v_add_u32_e32 v13, 0xfffffc10, v8
	v_cvt_f32_f16_e32 v2, v2
	v_lshl_or_b32 v8, v13, 12, v4
	v_cmp_gt_i32_e32 vcc, 1, v13
	v_cndmask_b32_e32 v6, v8, v6, vcc
	v_and_b32_e32 v8, 7, v6
	v_cmp_lt_i32_e32 vcc, 5, v8
	v_cmp_eq_u32_e64 s[0:1], 3, v8
	v_cvt_f64_f32_e32 v[8:9], v2
	v_lshrrev_b32_e32 v6, 2, v6
	s_or_b64 vcc, s[0:1], vcc
	v_addc_co_u32_e32 v2, vcc, 0, v6, vcc
	v_mul_f64 v[8:9], v[8:9], s[14:15]
	v_cmp_gt_i32_e32 vcc, 31, v13
	v_cndmask_b32_e32 v2, v5, v2, vcc
	v_cmp_ne_u32_e32 vcc, 0, v4
	v_cndmask_b32_e64 v4, 0, 1, vcc
	v_lshl_or_b32 v4, v4, 9, v5
	v_cmp_eq_u32_e32 vcc, s16, v13
	v_cndmask_b32_e32 v2, v2, v4, vcc
	v_lshrrev_b32_e32 v4, 16, v7
	v_and_or_b32 v2, v4, s10, v2
	v_and_or_b32 v4, v9, s18, v8
	v_cmp_ne_u32_e32 vcc, 0, v4
	v_cndmask_b32_e64 v4, 0, 1, vcc
	v_lshrrev_b32_e32 v6, 8, v9
	v_bfe_u32 v7, v9, 20, 11
	v_and_or_b32 v4, v6, s17, v4
	v_sub_u32_e32 v8, 0x3f1, v7
	v_or_b32_e32 v6, 0x1000, v4
	v_med3_i32 v8, v8, 0, 13
	v_lshrrev_b32_e32 v10, v8, v6
	v_lshlrev_b32_e32 v8, v8, v10
	v_cmp_ne_u32_e32 vcc, v8, v6
	v_cndmask_b32_e64 v6, 0, 1, vcc
	v_or_b32_e32 v6, v10, v6
	global_load_dword v10, v24, s[6:7] offset:756
	v_add_u32_e32 v7, 0xfffffc10, v7
	v_lshl_or_b32 v8, v7, 12, v4
	v_cmp_gt_i32_e32 vcc, 1, v7
	v_cndmask_b32_e32 v6, v8, v6, vcc
	v_and_b32_e32 v8, 7, v6
	v_cmp_lt_i32_e32 vcc, 5, v8
	v_cmp_eq_u32_e64 s[0:1], 3, v8
	v_lshrrev_b32_e32 v8, 16, v3
	v_lshrrev_b32_e32 v6, 2, v6
	s_or_b64 vcc, s[0:1], vcc
	v_addc_co_u32_e32 v6, vcc, 0, v6, vcc
	v_cmp_gt_i32_e32 vcc, 31, v7
	v_cndmask_b32_e32 v6, v5, v6, vcc
	s_waitcnt vmcnt(2)
	v_mul_f16_sdwa v13, v8, v11 dst_sel:DWORD dst_unused:UNUSED_PAD src0_sel:DWORD src1_sel:WORD_1
	v_fma_f16 v13, v3, v11, v13
	v_cvt_f32_f16_e32 v13, v13
	v_cmp_ne_u32_e32 vcc, 0, v4
	v_cndmask_b32_e64 v4, 0, 1, vcc
	v_lshl_or_b32 v4, v4, 9, v5
	v_cmp_eq_u32_e32 vcc, s16, v7
	v_cndmask_b32_e32 v4, v6, v4, vcc
	v_cvt_f64_f32_e32 v[6:7], v13
	v_lshrrev_b32_e32 v9, 16, v9
	v_and_or_b32 v4, v9, s10, v4
	v_and_b32_e32 v2, 0xffff, v2
	v_mul_f64 v[6:7], v[6:7], s[14:15]
	v_lshl_or_b32 v2, v4, 16, v2
	v_mov_b32_e32 v4, s2
	v_add_co_u32_e32 v0, vcc, s3, v0
	v_addc_co_u32_e32 v1, vcc, v1, v4, vcc
	global_store_dword v[0:1], v2, off
	v_and_or_b32 v2, v7, s18, v6
	v_cmp_ne_u32_e32 vcc, 0, v2
	v_cndmask_b32_e64 v2, 0, 1, vcc
	v_lshrrev_b32_e32 v4, 8, v7
	v_bfe_u32 v6, v7, 20, 11
	v_and_or_b32 v4, v4, s17, v2
	v_sub_u32_e32 v9, 0x3f1, v6
	v_or_b32_e32 v2, 0x1000, v4
	v_med3_i32 v9, v9, 0, 13
	v_lshrrev_b32_e32 v13, v9, v2
	v_mul_f16_sdwa v3, v3, v11 dst_sel:DWORD dst_unused:UNUSED_PAD src0_sel:DWORD src1_sel:WORD_1
	v_lshlrev_b32_e32 v9, v9, v13
	v_fma_f16 v3, v11, v8, -v3
	v_cmp_ne_u32_e32 vcc, v9, v2
	v_cvt_f32_f16_e32 v3, v3
	v_cndmask_b32_e64 v2, 0, 1, vcc
	v_add_u32_e32 v6, 0xfffffc10, v6
	v_or_b32_e32 v2, v13, v2
	v_lshl_or_b32 v9, v6, 12, v4
	v_cmp_gt_i32_e32 vcc, 1, v6
	v_cndmask_b32_e32 v2, v9, v2, vcc
	v_and_b32_e32 v9, 7, v2
	v_lshrrev_b32_e32 v8, 2, v2
	v_cvt_f64_f32_e32 v[2:3], v3
	v_cmp_lt_i32_e32 vcc, 5, v9
	v_cmp_eq_u32_e64 s[0:1], 3, v9
	s_or_b64 vcc, s[0:1], vcc
	v_mul_f64 v[2:3], v[2:3], s[14:15]
	v_addc_co_u32_e32 v8, vcc, 0, v8, vcc
	v_cmp_gt_i32_e32 vcc, 31, v6
	v_cndmask_b32_e32 v8, v5, v8, vcc
	v_cmp_ne_u32_e32 vcc, 0, v4
	v_cndmask_b32_e64 v4, 0, 1, vcc
	v_lshl_or_b32 v4, v4, 9, v5
	v_cmp_eq_u32_e32 vcc, s16, v6
	v_and_or_b32 v2, v3, s18, v2
	v_cndmask_b32_e32 v4, v8, v4, vcc
	v_lshrrev_b32_e32 v6, 16, v7
	v_cmp_ne_u32_e32 vcc, 0, v2
	v_and_or_b32 v4, v6, s10, v4
	v_cndmask_b32_e64 v2, 0, 1, vcc
	v_lshrrev_b32_e32 v6, 8, v3
	v_bfe_u32 v7, v3, 20, 11
	v_and_or_b32 v2, v6, s17, v2
	v_sub_u32_e32 v8, 0x3f1, v7
	v_or_b32_e32 v6, 0x1000, v2
	v_med3_i32 v8, v8, 0, 13
	v_lshrrev_b32_e32 v9, v8, v6
	v_lshlrev_b32_e32 v8, v8, v9
	v_cmp_ne_u32_e32 vcc, v8, v6
	v_cndmask_b32_e64 v6, 0, 1, vcc
	v_add_u32_e32 v7, 0xfffffc10, v7
	v_or_b32_e32 v6, v9, v6
	v_lshl_or_b32 v8, v7, 12, v2
	v_cmp_gt_i32_e32 vcc, 1, v7
	v_cndmask_b32_e32 v6, v8, v6, vcc
	v_and_b32_e32 v8, 7, v6
	v_cmp_lt_i32_e32 vcc, 5, v8
	v_cmp_eq_u32_e64 s[0:1], 3, v8
	v_lshrrev_b32_e32 v8, 16, v12
	v_lshrrev_b32_e32 v6, 2, v6
	s_or_b64 vcc, s[0:1], vcc
	s_waitcnt vmcnt(1)
	v_mul_f16_sdwa v9, v8, v10 dst_sel:DWORD dst_unused:UNUSED_PAD src0_sel:DWORD src1_sel:WORD_1
	v_addc_co_u32_e32 v6, vcc, 0, v6, vcc
	v_fma_f16 v9, v12, v10, v9
	v_cmp_gt_i32_e32 vcc, 31, v7
	v_cvt_f32_f16_e32 v9, v9
	v_cndmask_b32_e32 v6, v5, v6, vcc
	v_cmp_ne_u32_e32 vcc, 0, v2
	v_cndmask_b32_e64 v2, 0, 1, vcc
	v_lshl_or_b32 v2, v2, 9, v5
	v_cmp_eq_u32_e32 vcc, s16, v7
	v_cndmask_b32_e32 v2, v6, v2, vcc
	v_cvt_f64_f32_e32 v[6:7], v9
	v_lshrrev_b32_e32 v3, 16, v3
	v_and_or_b32 v9, v3, s10, v2
	v_add_co_u32_e32 v0, vcc, s3, v0
	v_mul_f64 v[2:3], v[6:7], s[14:15]
	v_mov_b32_e32 v6, s2
	v_and_b32_e32 v4, 0xffff, v4
	v_addc_co_u32_e32 v1, vcc, v1, v6, vcc
	v_lshl_or_b32 v4, v9, 16, v4
	global_store_dword v[0:1], v4, off
	v_and_or_b32 v2, v3, s18, v2
	v_cmp_ne_u32_e32 vcc, 0, v2
	v_cndmask_b32_e64 v2, 0, 1, vcc
	v_lshrrev_b32_e32 v4, 8, v3
	v_bfe_u32 v6, v3, 20, 11
	v_and_or_b32 v2, v4, s17, v2
	v_sub_u32_e32 v7, 0x3f1, v6
	v_or_b32_e32 v4, 0x1000, v2
	v_med3_i32 v7, v7, 0, 13
	v_lshrrev_b32_e32 v9, v7, v4
	v_lshlrev_b32_e32 v7, v7, v9
	v_cmp_ne_u32_e32 vcc, v7, v4
	v_mul_f16_sdwa v7, v12, v10 dst_sel:DWORD dst_unused:UNUSED_PAD src0_sel:DWORD src1_sel:WORD_1
	v_cndmask_b32_e64 v4, 0, 1, vcc
	v_fma_f16 v7, v10, v8, -v7
	v_or_b32_e32 v4, v9, v4
	v_add_u32_e32 v9, 0xfffffc10, v6
	v_cvt_f32_f16_e32 v7, v7
	v_lshl_or_b32 v6, v9, 12, v2
	v_cmp_gt_i32_e32 vcc, 1, v9
	v_cndmask_b32_e32 v4, v6, v4, vcc
	v_and_b32_e32 v6, 7, v4
	v_cmp_lt_i32_e32 vcc, 5, v6
	v_cmp_eq_u32_e64 s[0:1], 3, v6
	v_cvt_f64_f32_e32 v[6:7], v7
	v_lshrrev_b32_e32 v4, 2, v4
	s_or_b64 vcc, s[0:1], vcc
	v_addc_co_u32_e32 v4, vcc, 0, v4, vcc
	v_mul_f64 v[6:7], v[6:7], s[14:15]
	v_cmp_gt_i32_e32 vcc, 31, v9
	v_cndmask_b32_e32 v4, v5, v4, vcc
	v_cmp_ne_u32_e32 vcc, 0, v2
	v_cndmask_b32_e64 v2, 0, 1, vcc
	v_lshl_or_b32 v2, v2, 9, v5
	v_cmp_eq_u32_e32 vcc, s16, v9
	v_cndmask_b32_e32 v2, v4, v2, vcc
	v_lshrrev_b32_e32 v3, 16, v3
	v_and_or_b32 v2, v3, s10, v2
	v_and_or_b32 v3, v7, s18, v6
	v_cmp_ne_u32_e32 vcc, 0, v3
	v_cndmask_b32_e64 v3, 0, 1, vcc
	v_lshrrev_b32_e32 v4, 8, v7
	v_bfe_u32 v6, v7, 20, 11
	v_and_or_b32 v3, v4, s17, v3
	v_sub_u32_e32 v8, 0x3f1, v6
	v_or_b32_e32 v4, 0x1000, v3
	v_med3_i32 v8, v8, 0, 13
	v_lshrrev_b32_e32 v9, v8, v4
	v_lshlrev_b32_e32 v8, v8, v9
	v_cmp_ne_u32_e32 vcc, v8, v4
	v_cndmask_b32_e64 v4, 0, 1, vcc
	v_add_u32_e32 v6, 0xfffffc10, v6
	v_or_b32_e32 v4, v9, v4
	v_lshl_or_b32 v8, v6, 12, v3
	v_cmp_gt_i32_e32 vcc, 1, v6
	v_cndmask_b32_e32 v4, v8, v4, vcc
	v_and_b32_e32 v8, 7, v4
	v_cmp_lt_i32_e32 vcc, 5, v8
	v_cmp_eq_u32_e64 s[0:1], 3, v8
	v_lshrrev_b32_e32 v4, 2, v4
	s_or_b64 vcc, s[0:1], vcc
	v_addc_co_u32_e32 v4, vcc, 0, v4, vcc
	v_cmp_gt_i32_e32 vcc, 31, v6
	v_cndmask_b32_e32 v4, v5, v4, vcc
	v_cmp_ne_u32_e32 vcc, 0, v3
	v_cndmask_b32_e64 v3, 0, 1, vcc
	v_lshl_or_b32 v3, v3, 9, v5
	v_cmp_eq_u32_e32 vcc, s16, v6
	v_cndmask_b32_e32 v3, v4, v3, vcc
	v_lshrrev_b32_e32 v4, 16, v7
	v_and_or_b32 v3, v4, s10, v3
	v_and_b32_e32 v2, 0xffff, v2
	v_lshl_or_b32 v2, v3, 16, v2
	v_mov_b32_e32 v3, s2
	v_add_co_u32_e32 v0, vcc, s3, v0
	v_addc_co_u32_e32 v1, vcc, v1, v3, vcc
	global_store_dword v[0:1], v2, off
.LBB0_23:
	s_endpgm
	.section	.rodata,"a",@progbits
	.p2align	6, 0x0
	.amdhsa_kernel bluestein_single_back_len210_dim1_half_op_CI_CI
		.amdhsa_group_segment_fixed_size 1680
		.amdhsa_private_segment_fixed_size 0
		.amdhsa_kernarg_size 104
		.amdhsa_user_sgpr_count 6
		.amdhsa_user_sgpr_private_segment_buffer 1
		.amdhsa_user_sgpr_dispatch_ptr 0
		.amdhsa_user_sgpr_queue_ptr 0
		.amdhsa_user_sgpr_kernarg_segment_ptr 1
		.amdhsa_user_sgpr_dispatch_id 0
		.amdhsa_user_sgpr_flat_scratch_init 0
		.amdhsa_user_sgpr_private_segment_size 0
		.amdhsa_uses_dynamic_stack 0
		.amdhsa_system_sgpr_private_segment_wavefront_offset 0
		.amdhsa_system_sgpr_workgroup_id_x 1
		.amdhsa_system_sgpr_workgroup_id_y 0
		.amdhsa_system_sgpr_workgroup_id_z 0
		.amdhsa_system_sgpr_workgroup_info 0
		.amdhsa_system_vgpr_workitem_id 0
		.amdhsa_next_free_vgpr 71
		.amdhsa_next_free_sgpr 20
		.amdhsa_reserve_vcc 1
		.amdhsa_reserve_flat_scratch 0
		.amdhsa_float_round_mode_32 0
		.amdhsa_float_round_mode_16_64 0
		.amdhsa_float_denorm_mode_32 3
		.amdhsa_float_denorm_mode_16_64 3
		.amdhsa_dx10_clamp 1
		.amdhsa_ieee_mode 1
		.amdhsa_fp16_overflow 0
		.amdhsa_exception_fp_ieee_invalid_op 0
		.amdhsa_exception_fp_denorm_src 0
		.amdhsa_exception_fp_ieee_div_zero 0
		.amdhsa_exception_fp_ieee_overflow 0
		.amdhsa_exception_fp_ieee_underflow 0
		.amdhsa_exception_fp_ieee_inexact 0
		.amdhsa_exception_int_div_zero 0
	.end_amdhsa_kernel
	.text
.Lfunc_end0:
	.size	bluestein_single_back_len210_dim1_half_op_CI_CI, .Lfunc_end0-bluestein_single_back_len210_dim1_half_op_CI_CI
                                        ; -- End function
	.section	.AMDGPU.csdata,"",@progbits
; Kernel info:
; codeLenInByte = 12764
; NumSgprs: 24
; NumVgprs: 71
; ScratchSize: 0
; MemoryBound: 0
; FloatMode: 240
; IeeeMode: 1
; LDSByteSize: 1680 bytes/workgroup (compile time only)
; SGPRBlocks: 2
; VGPRBlocks: 17
; NumSGPRsForWavesPerEU: 24
; NumVGPRsForWavesPerEU: 71
; Occupancy: 3
; WaveLimiterHint : 1
; COMPUTE_PGM_RSRC2:SCRATCH_EN: 0
; COMPUTE_PGM_RSRC2:USER_SGPR: 6
; COMPUTE_PGM_RSRC2:TRAP_HANDLER: 0
; COMPUTE_PGM_RSRC2:TGID_X_EN: 1
; COMPUTE_PGM_RSRC2:TGID_Y_EN: 0
; COMPUTE_PGM_RSRC2:TGID_Z_EN: 0
; COMPUTE_PGM_RSRC2:TIDIG_COMP_CNT: 0
	.type	__hip_cuid_54830de5650a20af,@object ; @__hip_cuid_54830de5650a20af
	.section	.bss,"aw",@nobits
	.globl	__hip_cuid_54830de5650a20af
__hip_cuid_54830de5650a20af:
	.byte	0                               ; 0x0
	.size	__hip_cuid_54830de5650a20af, 1

	.ident	"AMD clang version 19.0.0git (https://github.com/RadeonOpenCompute/llvm-project roc-6.4.0 25133 c7fe45cf4b819c5991fe208aaa96edf142730f1d)"
	.section	".note.GNU-stack","",@progbits
	.addrsig
	.addrsig_sym __hip_cuid_54830de5650a20af
	.amdgpu_metadata
---
amdhsa.kernels:
  - .args:
      - .actual_access:  read_only
        .address_space:  global
        .offset:         0
        .size:           8
        .value_kind:     global_buffer
      - .actual_access:  read_only
        .address_space:  global
        .offset:         8
        .size:           8
        .value_kind:     global_buffer
      - .actual_access:  read_only
        .address_space:  global
        .offset:         16
        .size:           8
        .value_kind:     global_buffer
      - .actual_access:  read_only
        .address_space:  global
        .offset:         24
        .size:           8
        .value_kind:     global_buffer
      - .actual_access:  read_only
        .address_space:  global
        .offset:         32
        .size:           8
        .value_kind:     global_buffer
      - .offset:         40
        .size:           8
        .value_kind:     by_value
      - .address_space:  global
        .offset:         48
        .size:           8
        .value_kind:     global_buffer
      - .address_space:  global
        .offset:         56
        .size:           8
        .value_kind:     global_buffer
      - .address_space:  global
        .offset:         64
        .size:           8
        .value_kind:     global_buffer
      - .address_space:  global
        .offset:         72
        .size:           8
        .value_kind:     global_buffer
      - .offset:         80
        .size:           4
        .value_kind:     by_value
      - .address_space:  global
        .offset:         88
        .size:           8
        .value_kind:     global_buffer
      - .address_space:  global
        .offset:         96
        .size:           8
        .value_kind:     global_buffer
    .group_segment_fixed_size: 1680
    .kernarg_segment_align: 8
    .kernarg_segment_size: 104
    .language:       OpenCL C
    .language_version:
      - 2
      - 0
    .max_flat_workgroup_size: 60
    .name:           bluestein_single_back_len210_dim1_half_op_CI_CI
    .private_segment_fixed_size: 0
    .sgpr_count:     24
    .sgpr_spill_count: 0
    .symbol:         bluestein_single_back_len210_dim1_half_op_CI_CI.kd
    .uniform_work_group_size: 1
    .uses_dynamic_stack: false
    .vgpr_count:     71
    .vgpr_spill_count: 0
    .wavefront_size: 64
amdhsa.target:   amdgcn-amd-amdhsa--gfx906
amdhsa.version:
  - 1
  - 2
...

	.end_amdgpu_metadata
